;; amdgpu-corpus repo=ROCm/aiter kind=harvested arch=n/a opt=n/a

/root/src/amdgpu-assembly/repos/ROCm__aiter/hsa/gfx942/fmoe_2stages/fmoe_stage1_bf16_pertokenFp8_doweight_g1u1_80x128_pf3.co:	file format elf64-amdgpu

Disassembly of section .text:

0000000000002a00 <_ZN5aiter53fmoe_stage1_bf16_pertokenFp8_doweight_g1u1_80x128_pf3E>:
	s_and_b32 s1, s1, 0xffff                                   // 000000002A00: 8601FF01 0000FFFF
	s_load_dwordx2 s[8:9], s[0:1], 0x0                         // 000000002A08: C0060200 00000000
	s_load_dwordx2 s[20:21], s[0:1], 0x10                      // 000000002A10: C0060500 00000010
	s_load_dwordx2 s[24:25], s[0:1], 0x20                      // 000000002A18: C0060600 00000020
	s_load_dwordx2 s[48:49], s[0:1], 0x30                      // 000000002A20: C0060C00 00000030
	s_load_dwordx2 s[28:29], s[0:1], 0x40                      // 000000002A28: C0060700 00000040
	s_load_dwordx2 s[32:33], s[0:1], 0x50                      // 000000002A30: C0060800 00000050
	s_load_dwordx2 s[36:37], s[0:1], 0x60                      // 000000002A38: C0060900 00000060
	s_load_dwordx2 s[12:13], s[0:1], 0x70                      // 000000002A40: C0060300 00000070
	s_load_dwordx2 s[44:45], s[0:1], 0x80                      // 000000002A48: C0060B00 00000080
	s_mov_b32 s89, 0                                           // 000000002A50: BED90080
	s_load_dword s64, s[0:1], 0x90                             // 000000002A54: C0021000 00000090
	s_load_dword s65, s[0:1], 0xa0                             // 000000002A5C: C0021040 000000A0
	s_load_dword s66, s[0:1], 0xb0                             // 000000002A64: C0021080 000000B0
	s_load_dword s67, s[0:1], 0xc0                             // 000000002A6C: C00210C0 000000C0
	s_load_dword s68, s[0:1], 0xd0                             // 000000002A74: C0021100 000000D0
	s_load_dword s69, s[0:1], 0xe0                             // 000000002A7C: C0021140 000000E0
	s_load_dword s71, s[0:1], 0xf0                             // 000000002A84: C00211C0 000000F0
	s_load_dword s72, s[0:1], 0x100                            // 000000002A8C: C0021200 00000100
	s_load_dword s74, s[0:1], 0x110                            // 000000002A94: C0021280 00000110
	s_load_dword s76, s[0:1], 0x120                            // 000000002A9C: C0021300 00000120
	s_load_dword s56, s[0:1], 0x130                            // 000000002AA4: C0020E00 00000130
	s_load_dword s88, s[0:1], 0x140                            // 000000002AAC: C0021600 00000140
	s_load_dword s89, s[0:1], 0x150                            // 000000002AB4: C0021640 00000150
	s_load_dwordx2 s[40:41], s[0:1], 0x160                     // 000000002ABC: C0060A00 00000160
	v_lshrrev_b32_e32 v1, 10, v0                               // 000000002AC4: 2002008A
	v_lshrrev_b32_e32 v2, 10, v1                               // 000000002AC8: 2004028A
	v_and_b32_e32 v2, 0x3ff, v2                                // 000000002ACC: 260404FF 000003FF
	v_and_b32_e32 v1, 0x3ff, v1                                // 000000002AD4: 260202FF 000003FF
	v_and_b32_e32 v0, 0x3ff, v0                                // 000000002ADC: 260000FF 000003FF
	v_lshrrev_b32_e32 v3, 6, v0                                // 000000002AE4: 20060086
	v_and_b32_e32 v0, 63, v0                                   // 000000002AE8: 260000BF
	s_mov_b32 s2, s2                                           // 000000002AEC: BE820002
	s_mov_b32 s3, s3                                           // 000000002AF0: BE830003
	s_mov_b32 s4, s4                                           // 000000002AF4: BE840004
	v_readfirstlane_b32 s7, v3                                 // 000000002AF8: 7E0E0503
	s_waitcnt lgkmcnt(0)                                       // 000000002AFC: BF8CC07F
	s_and_b32 s49, s49, 0xffff                                 // 000000002B00: 8631FF31 0000FFFF
	s_load_dword s48, s[48:49], 0x0                            // 000000002B08: C0020C18 00000000
	s_and_b32 s45, s45, 0xffff                                 // 000000002B10: 862DFF2D 0000FFFF
	s_and_b32 s9, s9, 0xffff                                   // 000000002B18: 8609FF09 0000FFFF
	s_mul_i32 s60, s66, s68                                    // 000000002B20: 923C4442
	s_mul_i32 s61, s66, 4                                      // 000000002B24: 923D8442
	s_mov_b32 s22, s60                                         // 000000002B28: BE96003C
	s_mov_b32 s26, -16                                         // 000000002B2C: BE9A00D0
	s_mov_b32 s30, s61                                         // 000000002B30: BE9E003D
	s_mov_b32 s14, 0x140                                       // 000000002B34: BE8E00FF 00000140
	s_mov_b32 s38, -16                                         // 000000002B3C: BEA600D0
	s_mov_b32 s10, -16                                         // 000000002B40: BE8A00D0
	s_mov_b32 s34, 0x200                                       // 000000002B44: BEA200FF 00000200
	s_mov_b32 s23, 0x20000                                     // 000000002B4C: BE9700FF 00020000
	s_mov_b32 s27, 0x20000                                     // 000000002B54: BE9B00FF 00020000
	s_mov_b32 s31, 0x20000                                     // 000000002B5C: BE9F00FF 00020000
	s_mov_b32 s35, 0x20000                                     // 000000002B64: BEA300FF 00020000
	s_mov_b32 s15, 0x20000                                     // 000000002B6C: BE8F00FF 00020000
	s_mov_b32 s39, 0x20000                                     // 000000002B74: BEA700FF 00020000
	s_mov_b32 s11, 0x20000                                     // 000000002B7C: BE8B00FF 00020000
	s_and_b32 s21, s21, 0xffff                                 // 000000002B84: 8615FF15 0000FFFF
	s_and_b32 s25, s25, 0xffff                                 // 000000002B8C: 8619FF19 0000FFFF
	s_and_b32 s29, s29, 0xffff                                 // 000000002B94: 861DFF1D 0000FFFF
	s_and_b32 s33, s33, 0xffff                                 // 000000002B9C: 8621FF21 0000FFFF
	s_and_b32 s13, s13, 0xffff                                 // 000000002BA4: 860DFF0D 0000FFFF
	s_and_b32 s37, s37, 0xffff                                 // 000000002BAC: 8625FF25 0000FFFF
	s_or_b32 s21, s21, 0x40000                                 // 000000002BB4: 8715FF15 00040000
	s_or_b32 s25, s25, 0x40000                                 // 000000002BBC: 8719FF19 00040000
	s_or_b32 s29, s29, 0x40000                                 // 000000002BC4: 871DFF1D 00040000
	s_or_b32 s33, s33, 0x40000                                 // 000000002BCC: 8721FF21 00040000
	s_or_b32 s13, s13, 0x40000                                 // 000000002BD4: 870DFF0D 00040000
	s_or_b32 s37, s37, 0x40000                                 // 000000002BDC: 8725FF25 00040000
	s_mov_b32 s42, -16                                         // 000000002BE4: BEAA00D0
	s_mov_b32 s43, 0x20000                                     // 000000002BE8: BEAB00FF 00020000
	s_and_b32 s41, s41, 0xffff                                 // 000000002BF0: 8629FF29 0000FFFF
	s_or_b32 s41, s41, 0x40000                                 // 000000002BF8: 8729FF29 00040000
	v_accvgpr_write_b32 a127, 0                                // 000000002C00: D3D9407F 18000080
	v_mov_b32_e32 v148, 0                                      // 000000002C08: 7F280280
	s_waitcnt lgkmcnt(0)                                       // 000000002C0C: BF8CC07F
	s_mul_i32 s60, s3, 0x50                                    // 000000002C10: 923CFF03 00000050
	s_cmp_lt_i32 s60, s48                                      // 000000002C18: BF04303C
	s_cbranch_scc0 label_26FA                                  // 000000002C1C: BF84266F
	s_mov_b32 s80, 0                                           // 000000002C20: BED00080
	s_lshr_b32 s81, s64, s88                                   // 000000002C24: 8F515840
	s_mul_i32 s60, s3, 4                                       // 000000002C28: 923C8403
	s_add_u32 s44, s60, s44                                    // 000000002C2C: 802C2C3C
	s_addc_u32 s45, 0, s45                                     // 000000002C30: 822D2D80
	s_load_dword s5, s[44:45], 0x0                             // 000000002C34: C0020156 00000000
	s_mul_i32 s60, s3, 0x50                                    // 000000002C3C: 923CFF03 00000050
	s_mul_i32 s60, 4, s60                                      // 000000002C44: 923C3C84
	s_add_u32 s12, s60, s12                                    // 000000002C48: 800C0C3C
	s_addc_u32 s13, 0, s13                                     // 000000002C4C: 820D0D80
	v_and_b32_e32 v4, 15, v0                                   // 000000002C50: 2608008F
	v_lshlrev_b32_e32 v4, 2, v4                                // 000000002C54: 24080882
	buffer_load_dword v30, v4, s[12:15], 0 offen               // 000000002C58: E0501000 80031E04
	v_add_u32_e32 v4, 64, v4                                   // 000000002C60: 680808C0
	buffer_load_dword v31, v4, s[12:15], 0 offen               // 000000002C64: E0501000 80031F04
	v_add_u32_e32 v4, 64, v4                                   // 000000002C6C: 680808C0
	buffer_load_dword v32, v4, s[12:15], 0 offen               // 000000002C70: E0501000 80032004
	v_add_u32_e32 v4, 64, v4                                   // 000000002C78: 680808C0
	buffer_load_dword v33, v4, s[12:15], 0 offen               // 000000002C7C: E0501000 80032104
	v_add_u32_e32 v4, 64, v4                                   // 000000002C84: 680808C0
	buffer_load_dword v34, v4, s[12:15], 0 offen               // 000000002C88: E0501000 80032204
	v_add_u32_e32 v4, 64, v4                                   // 000000002C90: 680808C0
	s_mul_i32 s60, 4, s7                                       // 000000002C94: 923C0784
	v_lshlrev_b32_e32 v4, 4, v0                                // 000000002C98: 24080084
	v_add_u32_e32 v4, s60, v4                                  // 000000002C9C: 6808083C
	buffer_load_dword v3, v4, s[12:15], 0 offen                // 000000002CA0: E0501000 80030304
	v_mov_b32_e32 v64, 0                                       // 000000002CA8: 7E800280
	v_mov_b32_e32 v104, 0                                      // 000000002CAC: 7ED00280
	v_mov_b32_e32 v65, 0                                       // 000000002CB0: 7E820280
	v_mov_b32_e32 v105, 0                                      // 000000002CB4: 7ED20280
	v_mov_b32_e32 v66, 0                                       // 000000002CB8: 7E840280
	v_mov_b32_e32 v106, 0                                      // 000000002CBC: 7ED40280
	v_mov_b32_e32 v67, 0                                       // 000000002CC0: 7E860280
	v_mov_b32_e32 v107, 0                                      // 000000002CC4: 7ED60280
	v_mov_b32_e32 v68, 0                                       // 000000002CC8: 7E880280
	v_mov_b32_e32 v108, 0                                      // 000000002CCC: 7ED80280
	v_mov_b32_e32 v69, 0                                       // 000000002CD0: 7E8A0280
	v_mov_b32_e32 v109, 0                                      // 000000002CD4: 7EDA0280
	v_mov_b32_e32 v70, 0                                       // 000000002CD8: 7E8C0280
	v_mov_b32_e32 v110, 0                                      // 000000002CDC: 7EDC0280
	v_mov_b32_e32 v71, 0                                       // 000000002CE0: 7E8E0280
	v_mov_b32_e32 v111, 0                                      // 000000002CE4: 7EDE0280
	v_mov_b32_e32 v72, 0                                       // 000000002CE8: 7E900280
	v_mov_b32_e32 v112, 0                                      // 000000002CEC: 7EE00280
	v_mov_b32_e32 v73, 0                                       // 000000002CF0: 7E920280
	v_mov_b32_e32 v113, 0                                      // 000000002CF4: 7EE20280
	v_mov_b32_e32 v74, 0                                       // 000000002CF8: 7E940280
	v_mov_b32_e32 v114, 0                                      // 000000002CFC: 7EE40280
	v_mov_b32_e32 v75, 0                                       // 000000002D00: 7E960280
	v_mov_b32_e32 v115, 0                                      // 000000002D04: 7EE60280
	v_mov_b32_e32 v76, 0                                       // 000000002D08: 7E980280
	v_mov_b32_e32 v116, 0                                      // 000000002D0C: 7EE80280
	v_mov_b32_e32 v77, 0                                       // 000000002D10: 7E9A0280
	v_mov_b32_e32 v117, 0                                      // 000000002D14: 7EEA0280
	v_mov_b32_e32 v78, 0                                       // 000000002D18: 7E9C0280
	v_mov_b32_e32 v118, 0                                      // 000000002D1C: 7EEC0280
	v_mov_b32_e32 v79, 0                                       // 000000002D20: 7E9E0280
	v_mov_b32_e32 v119, 0                                      // 000000002D24: 7EEE0280
	v_mov_b32_e32 v80, 0                                       // 000000002D28: 7EA00280
	v_mov_b32_e32 v120, 0                                      // 000000002D2C: 7EF00280
	v_mov_b32_e32 v81, 0                                       // 000000002D30: 7EA20280
	v_mov_b32_e32 v121, 0                                      // 000000002D34: 7EF20280
	v_mov_b32_e32 v82, 0                                       // 000000002D38: 7EA40280
	v_mov_b32_e32 v122, 0                                      // 000000002D3C: 7EF40280
	v_mov_b32_e32 v83, 0                                       // 000000002D40: 7EA60280
	v_mov_b32_e32 v123, 0                                      // 000000002D44: 7EF60280
	v_mov_b32_e32 v84, 0                                       // 000000002D48: 7EA80280
	v_mov_b32_e32 v124, 0                                      // 000000002D4C: 7EF80280
	v_mov_b32_e32 v85, 0                                       // 000000002D50: 7EAA0280
	v_mov_b32_e32 v125, 0                                      // 000000002D54: 7EFA0280
	v_mov_b32_e32 v86, 0                                       // 000000002D58: 7EAC0280
	v_mov_b32_e32 v126, 0                                      // 000000002D5C: 7EFC0280
	v_mov_b32_e32 v87, 0                                       // 000000002D60: 7EAE0280
	v_mov_b32_e32 v127, 0                                      // 000000002D64: 7EFE0280
	v_mov_b32_e32 v88, 0                                       // 000000002D68: 7EB00280
	v_mov_b32_e32 v128, 0                                      // 000000002D6C: 7F000280
	v_mov_b32_e32 v89, 0                                       // 000000002D70: 7EB20280
	v_mov_b32_e32 v129, 0                                      // 000000002D74: 7F020280
	v_mov_b32_e32 v90, 0                                       // 000000002D78: 7EB40280
	v_mov_b32_e32 v130, 0                                      // 000000002D7C: 7F040280
	v_mov_b32_e32 v91, 0                                       // 000000002D80: 7EB60280
	v_mov_b32_e32 v131, 0                                      // 000000002D84: 7F060280
	v_mov_b32_e32 v92, 0                                       // 000000002D88: 7EB80280
	v_mov_b32_e32 v132, 0                                      // 000000002D8C: 7F080280
	v_mov_b32_e32 v93, 0                                       // 000000002D90: 7EBA0280
	v_mov_b32_e32 v133, 0                                      // 000000002D94: 7F0A0280
	v_mov_b32_e32 v94, 0                                       // 000000002D98: 7EBC0280
	v_mov_b32_e32 v134, 0                                      // 000000002D9C: 7F0C0280
	v_mov_b32_e32 v95, 0                                       // 000000002DA0: 7EBE0280
	v_mov_b32_e32 v135, 0                                      // 000000002DA4: 7F0E0280
	v_mov_b32_e32 v96, 0                                       // 000000002DA8: 7EC00280
	v_mov_b32_e32 v136, 0                                      // 000000002DAC: 7F100280
	v_mov_b32_e32 v97, 0                                       // 000000002DB0: 7EC20280
	v_mov_b32_e32 v137, 0                                      // 000000002DB4: 7F120280
	v_mov_b32_e32 v98, 0                                       // 000000002DB8: 7EC40280
	v_mov_b32_e32 v138, 0                                      // 000000002DBC: 7F140280
	v_mov_b32_e32 v99, 0                                       // 000000002DC0: 7EC60280
	v_mov_b32_e32 v139, 0                                      // 000000002DC4: 7F160280
	v_mov_b32_e32 v100, 0                                      // 000000002DC8: 7EC80280
	v_mov_b32_e32 v140, 0                                      // 000000002DCC: 7F180280
	v_mov_b32_e32 v101, 0                                      // 000000002DD0: 7ECA0280
	v_mov_b32_e32 v141, 0                                      // 000000002DD4: 7F1A0280
	v_mov_b32_e32 v102, 0                                      // 000000002DD8: 7ECC0280
	v_mov_b32_e32 v142, 0                                      // 000000002DDC: 7F1C0280
	v_mov_b32_e32 v103, 0                                      // 000000002DE0: 7ECE0280
	v_mov_b32_e32 v143, 0                                      // 000000002DE4: 7F1E0280
	s_mul_i32 s60, s2, 0x100                                   // 000000002DE8: 923CFF02 00000100
	s_cmp_eq_u32 s88, 0                                        // 000000002DF0: BF068058
	s_cselect_b32 s61, 1, 2                                    // 000000002DF4: 853D8281
	s_mul_i32 s60, s60, s61                                    // 000000002DF8: 923C3D3C
	s_mov_b32 s90, s8                                          // 000000002DFC: BEDA0008
	s_mov_b32 s91, s9                                          // 000000002E00: BEDB0009
	s_add_u32 s8, s60, s8                                      // 000000002E04: 8008083C
	s_addc_u32 s9, 0, s9                                       // 000000002E08: 82090980
	v_lshrrev_b32_e32 v4, 4, v0                                // 000000002E0C: 20080084
	v_mul_lo_u32 v20, 34, v4                                   // 000000002E10: D2850014 000208A2
	v_and_b32_e32 v4, 15, v0                                   // 000000002E18: 2608008F
	v_mul_lo_u32 v5, 2, v4                                     // 000000002E1C: D2850005 00020882
	v_add_u32_e32 v20, v5, v20                                 // 000000002E24: 68282905
	s_mul_i32 s60, s7, 0x88                                    // 000000002E28: 923CFF07 00000088
	v_add_u32_e32 v20, s60, v20                                // 000000002E30: 6828283C
	v_lshlrev_b32_e32 v20, 2, v20                              // 000000002E34: 24282882
	v_and_b32_e32 v4, 31, v0                                   // 000000002E38: 2608009F
	v_lshrrev_b32_e32 v4, 1, v4                                // 000000002E3C: 20080881
	v_mul_lo_u32 v21, 34, v4                                   // 000000002E40: D2850015 000208A2
	v_lshrrev_b32_e32 v4, 5, v0                                // 000000002E48: 20080085
	v_mul_lo_u32 v4, 8, v4                                     // 000000002E4C: D2850004 00020888
	v_add_u32_e32 v21, v21, v4                                 // 000000002E54: 682A0915
	v_and_b32_e32 v5, 1, v0                                    // 000000002E58: 260A0081
	v_add_u32_e32 v21, v5, v21                                 // 000000002E5C: 682A2B05
	s_mul_i32 s60, s7, 2                                       // 000000002E60: 923C8207
	v_add_u32_e32 v21, s60, v21                                // 000000002E64: 682A2A3C
	v_lshlrev_b32_e32 v21, 2, v21                              // 000000002E68: 242A2A82
	s_mul_i32 s60, s7, 0xa20                                   // 000000002E6C: 923CFF07 00000A20
	s_add_u32 s48, 0, s60                                      // 000000002E74: 80303C80
	s_add_u32 s49, 0x2880, s48                                 // 000000002E78: 803130FF 00002880
	s_add_u32 s50, 0x2880, s49                                 // 000000002E80: 803231FF 00002880
	v_lshrrev_b32_e32 v4, 4, v0                                // 000000002E88: 20080084
	v_lshlrev_b32_e32 v5, 2, v4                                // 000000002E8C: 240A0882
	v_and_b32_e32 v4, 15, v0                                   // 000000002E90: 2608008F
	v_lshrrev_b32_e32 v6, 2, v4                                // 000000002E94: 200C0882
	v_lshlrev_b32_e32 v6, 5, v6                                // 000000002E98: 240C0C85
	v_add_u32_e32 v5, v6, v5                                   // 000000002E9C: 680A0B06
	v_and_b32_e32 v4, 3, v0                                    // 000000002EA0: 26080083
	v_mul_u32_u24_e32 v6, 0x288, v4                            // 000000002EA4: 100C08FF 00000288
	v_add_u32_e32 v5, v6, v5                                   // 000000002EAC: 680A0B06
	v_lshlrev_b32_e32 v2, 2, v5                                // 000000002EB0: 24040A82
	s_waitcnt lgkmcnt(0)                                       // 000000002EB4: BF8CC07F
	s_mul_i32 s60, s2, 0x80                                    // 000000002EB8: 923CFF02 00000080
	s_mul_i32 s60, s60, s69                                    // 000000002EC0: 923C453C
	s_mul_i32 s61, s5, s72                                     // 000000002EC4: 923D4805
	s_add_u32 s60, s61, s60                                    // 000000002EC8: 803C3C3D
	s_add_u32 s24, s60, s24                                    // 000000002ECC: 8018183C
	s_addc_u32 s25, 0, s25                                     // 000000002ED0: 82191980
	s_lshr_b32 s60, s64, s88                                   // 000000002ED4: 8F3C5840
	s_mul_i32 s60, s4, s60                                     // 000000002ED8: 923C3C04
	s_lshr_b32 s60, s60, 7                                     // 000000002EDC: 8F3C873C
	s_mul_i32 s60, s60, 0x800                                  // 000000002EE0: 923CFF3C 00000800
	s_add_u32 s24, s60, s24                                    // 000000002EE8: 8018183C
	s_addc_u32 s25, 0, s25                                     // 000000002EEC: 82191980
	s_lshr_b32 s60, s69, s88                                   // 000000002EF0: 8F3C5845
	s_mul_i32 s60, s4, s60                                     // 000000002EF4: 923C3C04
	s_add_u32 s20, s60, s20                                    // 000000002EF8: 8014143C
	s_addc_u32 s21, 0, s21                                     // 000000002EFC: 82151580
	s_mul_i32 s60, s7, 16                                      // 000000002F00: 923C9007
	s_mul_i32 s60, s60, s69                                    // 000000002F04: 923C453C
	v_lshlrev_b32_e32 v60, 4, v0                               // 000000002F08: 24780084
	v_add_u32_e32 v60, s60, v60                                // 000000002F0C: 6878783C
	s_mul_i32 s60, 64, s69                                     // 000000002F10: 923C45C0
	v_add_u32_e32 v61, s60, v60                                // 000000002F14: 687A783C
	s_mov_b32 s84, s24                                         // 000000002F18: BED40018
	s_mov_b32 s85, s25                                         // 000000002F1C: BED50019
	s_mov_b32 s86, s26                                         // 000000002F20: BED6001A
	s_mov_b32 s87, s27                                         // 000000002F24: BED7001B
	s_mul_i32 s60, s69, s65                                    // 000000002F28: 923C4145
	s_add_u32 s84, s60, s84                                    // 000000002F2C: 8054543C
	s_addc_u32 s85, 0, s85                                     // 000000002F30: 82555580
	v_lshrrev_b32_e32 v4, 4, v0                                // 000000002F34: 20080084
	v_lshlrev_b32_e32 v5, 2, v4                                // 000000002F38: 240A0882
	v_and_b32_e32 v4, 15, v0                                   // 000000002F3C: 2608008F
	v_lshrrev_b32_e32 v6, 2, v4                                // 000000002F40: 200C0882
	v_lshlrev_b32_e32 v6, 6, v6                                // 000000002F44: 240C0C86
	v_add_u32_e32 v5, v6, v5                                   // 000000002F48: 680A0B06
	v_and_b32_e32 v4, 3, v0                                    // 000000002F4C: 26080083
	v_add_u32_e32 v5, v4, v5                                   // 000000002F50: 680A0B04
	v_lshlrev_b32_e32 v22, 2, v5                               // 000000002F54: 242C0A82
	s_mul_i32 s60, s7, 16                                      // 000000002F58: 923C9007
	s_mul_i32 s60, s60, 4                                      // 000000002F5C: 923C843C
	v_add_u32_e32 v22, s60, v22                                // 000000002F60: 682C2C3C
	s_mul_i32 s60, s2, 0x80                                    // 000000002F64: 923CFF02 00000080
	s_mul_i32 s60, s60, 4                                      // 000000002F6C: 923C843C
	s_mul_i32 s61, s5, s74                                     // 000000002F70: 923D4A05
	s_add_u32 s61, s61, s60                                    // 000000002F74: 803D3C3D
	s_add_u32 s32, s61, s32                                    // 000000002F78: 8020203D
	s_addc_u32 s33, 0, s33                                     // 000000002F7C: 82212180
	s_mov_b32 s57, 0x80                                        // 000000002F80: BEB900FF 00000080
	s_mov_b32 s58, 0x800                                       // 000000002F88: BEBA00FF 00000800
	s_mov_b32 s83, s58                                         // 000000002F90: BED3003A
	s_mov_b32 s52, 0x7060302                                   // 000000002F94: BEB400FF 07060302
	s_mov_b32 s53, 0x400                                       // 000000002F9C: BEB500FF 00000400
	s_mov_b32 s54, 0x40100                                     // 000000002FA4: BEB600FF 00040100
	s_mov_b32 s55, 0x4020100                                   // 000000002FAC: BEB700FF 04020100
	s_mov_b32 s6, 0x3fb8aa3b                                   // 000000002FB4: BE8600FF 3FB8AA3B
	s_mov_b32 s78, 0xbd92220c                                  // 000000002FBC: BECE00FF BD92220C
	s_mov_b32 s79, 0xbd92220c                                  // 000000002FC4: BECF00FF BD92220C
	s_mov_b32 m0, s48                                          // 000000002FCC: BEFC0030
	v_mov_b32_e32 v1, 0xbfcc4231                               // 000000002FD0: 7E0202FF BFCC4231
	v_mov_b32_e32 v17, 0xffff0000                              // 000000002FD8: 7E2202FF FFFF0000
	v_mov_b32_e32 v18, 0x7fff0000                              // 000000002FE0: 7E2402FF 7FFF0000
	v_mov_b32_e32 v19, 0x7fff                                  // 000000002FE8: 7E2602FF 00007FFF
	s_waitcnt vmcnt(0) expcnt(0) lgkmcnt(0)                    // 000000002FF0: BF8C0000
	s_mul_i32 s60, s3, 0x50                                    // 000000002FF4: 923CFF03 00000050
	s_mul_i32 s60, 4, s60                                      // 000000002FFC: 923C3C84
	s_add_u32 s40, s60, s40                                    // 000000003000: 8028283C
	s_addc_u32 s41, 0, s41                                     // 000000003004: 82292980
	v_and_b32_e32 v4, 15, v0                                   // 000000003008: 2608008F
	v_lshlrev_b32_e32 v4, 2, v4                                // 00000000300C: 24080882
	buffer_load_dword v144, v4, s[40:43], 0 offen              // 000000003010: E0501000 800A9004
	buffer_load_dword v145, v4, s[40:43], 0 offen offset:64    // 000000003018: E0501040 800A9104
	buffer_load_dword v146, v4, s[40:43], 0 offen offset:128   // 000000003020: E0501080 800A9204
	buffer_load_dword v147, v4, s[40:43], 0 offen offset:192   // 000000003028: E05010C0 800A9304
	buffer_load_dword v148, v4, s[40:43], 0 offen offset:256   // 000000003030: E0501100 800A9404
	v_lshrrev_b32_e32 v4, 5, v0                                // 000000003038: 20080085
	v_xor_b32_e32 v5, 1, v4                                    // 00000000303C: 2A0A0881
	v_readlane_b32 s82, v3, 0                                  // 000000003040: D2890052 00010103
	s_and_b32 s82, s82, 0xffffff                               // 000000003048: 8652FF52 00FFFFFF
	v_mul_lo_u32 v6, v5, s82                                   // 000000003050: D2850006 0000A505
	v_readlane_b32 s82, v3, 1                                  // 000000003058: D2890052 00010303
	s_and_b32 s82, s82, 0xffffff                               // 000000003060: 8652FF52 00FFFFFF
	v_mul_lo_u32 v7, v4, s82                                   // 000000003068: D2850007 0000A504
	v_add_u32_e32 v50, v6, v7                                  // 000000003070: 68640F06
	v_mul_lo_u32 v50, v50, s68                                 // 000000003074: D2850032 00008932
	v_readlane_b32 s82, v3, 2                                  // 00000000307C: D2890052 00010503
	s_and_b32 s82, s82, 0xffffff                               // 000000003084: 8652FF52 00FFFFFF
	v_mul_lo_u32 v6, v5, s82                                   // 00000000308C: D2850006 0000A505
	v_readlane_b32 s82, v3, 3                                  // 000000003094: D2890052 00010703
	s_and_b32 s82, s82, 0xffffff                               // 00000000309C: 8652FF52 00FFFFFF
	v_mul_lo_u32 v7, v4, s82                                   // 0000000030A4: D2850007 0000A504
	v_add_u32_e32 v51, v6, v7                                  // 0000000030AC: 68660F06
	v_mul_lo_u32 v51, v51, s68                                 // 0000000030B0: D2850033 00008933
	v_readlane_b32 s82, v3, 4                                  // 0000000030B8: D2890052 00010903
	s_and_b32 s82, s82, 0xffffff                               // 0000000030C0: 8652FF52 00FFFFFF
	v_mul_lo_u32 v6, v5, s82                                   // 0000000030C8: D2850006 0000A505
	v_readlane_b32 s82, v3, 5                                  // 0000000030D0: D2890052 00010B03
	s_and_b32 s82, s82, 0xffffff                               // 0000000030D8: 8652FF52 00FFFFFF
	v_mul_lo_u32 v7, v4, s82                                   // 0000000030E0: D2850007 0000A504
	v_add_u32_e32 v52, v6, v7                                  // 0000000030E8: 68680F06
	v_mul_lo_u32 v52, v52, s68                                 // 0000000030EC: D2850034 00008934
	v_readlane_b32 s82, v3, 6                                  // 0000000030F4: D2890052 00010D03
	s_and_b32 s82, s82, 0xffffff                               // 0000000030FC: 8652FF52 00FFFFFF
	v_mul_lo_u32 v6, v5, s82                                   // 000000003104: D2850006 0000A505
	v_readlane_b32 s82, v3, 7                                  // 00000000310C: D2890052 00010F03
	s_and_b32 s82, s82, 0xffffff                               // 000000003114: 8652FF52 00FFFFFF
	v_mul_lo_u32 v7, v4, s82                                   // 00000000311C: D2850007 0000A504
	v_add_u32_e32 v53, v6, v7                                  // 000000003124: 686A0F06
	v_mul_lo_u32 v53, v53, s68                                 // 000000003128: D2850035 00008935
	v_readlane_b32 s82, v3, 8                                  // 000000003130: D2890052 00011103
	s_and_b32 s82, s82, 0xffffff                               // 000000003138: 8652FF52 00FFFFFF
	v_mul_lo_u32 v6, v5, s82                                   // 000000003140: D2850006 0000A505
	v_readlane_b32 s82, v3, 9                                  // 000000003148: D2890052 00011303
	s_and_b32 s82, s82, 0xffffff                               // 000000003150: 8652FF52 00FFFFFF
	v_mul_lo_u32 v7, v4, s82                                   // 000000003158: D2850007 0000A504
	v_add_u32_e32 v54, v6, v7                                  // 000000003160: 686C0F06
	v_mul_lo_u32 v54, v54, s68                                 // 000000003164: D2850036 00008936
	v_readlane_b32 s82, v3, 10                                 // 00000000316C: D2890052 00011503
	s_and_b32 s82, s82, 0xffffff                               // 000000003174: 8652FF52 00FFFFFF
	v_mul_lo_u32 v6, v5, s82                                   // 00000000317C: D2850006 0000A505
	v_readlane_b32 s82, v3, 11                                 // 000000003184: D2890052 00011703
	s_and_b32 s82, s82, 0xffffff                               // 00000000318C: 8652FF52 00FFFFFF
	v_mul_lo_u32 v7, v4, s82                                   // 000000003194: D2850007 0000A504
	v_add_u32_e32 v55, v6, v7                                  // 00000000319C: 686E0F06
	v_mul_lo_u32 v55, v55, s68                                 // 0000000031A0: D2850037 00008937
	v_readlane_b32 s82, v3, 12                                 // 0000000031A8: D2890052 00011903
	s_and_b32 s82, s82, 0xffffff                               // 0000000031B0: 8652FF52 00FFFFFF
	v_mul_lo_u32 v6, v5, s82                                   // 0000000031B8: D2850006 0000A505
	v_readlane_b32 s82, v3, 13                                 // 0000000031C0: D2890052 00011B03
	s_and_b32 s82, s82, 0xffffff                               // 0000000031C8: 8652FF52 00FFFFFF
	v_mul_lo_u32 v7, v4, s82                                   // 0000000031D0: D2850007 0000A504
	v_add_u32_e32 v56, v6, v7                                  // 0000000031D8: 68700F06
	v_mul_lo_u32 v56, v56, s68                                 // 0000000031DC: D2850038 00008938
	v_readlane_b32 s82, v3, 14                                 // 0000000031E4: D2890052 00011D03
	s_and_b32 s82, s82, 0xffffff                               // 0000000031EC: 8652FF52 00FFFFFF
	v_mul_lo_u32 v6, v5, s82                                   // 0000000031F4: D2850006 0000A505
	v_readlane_b32 s82, v3, 15                                 // 0000000031FC: D2890052 00011F03
	s_and_b32 s82, s82, 0xffffff                               // 000000003204: 8652FF52 00FFFFFF
	v_mul_lo_u32 v7, v4, s82                                   // 00000000320C: D2850007 0000A504
	v_add_u32_e32 v57, v6, v7                                  // 000000003214: 68720F06
	v_mul_lo_u32 v57, v57, s68                                 // 000000003218: D2850039 00008939
	v_readlane_b32 s82, v3, 16                                 // 000000003220: D2890052 00012103
	s_and_b32 s82, s82, 0xffffff                               // 000000003228: 8652FF52 00FFFFFF
	v_mul_lo_u32 v6, v5, s82                                   // 000000003230: D2850006 0000A505
	v_readlane_b32 s82, v3, 17                                 // 000000003238: D2890052 00012303
	s_and_b32 s82, s82, 0xffffff                               // 000000003240: 8652FF52 00FFFFFF
	v_mul_lo_u32 v7, v4, s82                                   // 000000003248: D2850007 0000A504
	v_add_u32_e32 v58, v6, v7                                  // 000000003250: 68740F06
	v_mul_lo_u32 v58, v58, s68                                 // 000000003254: D285003A 0000893A
	v_readlane_b32 s82, v3, 18                                 // 00000000325C: D2890052 00012503
	s_and_b32 s82, s82, 0xffffff                               // 000000003264: 8652FF52 00FFFFFF
	v_mul_lo_u32 v6, v5, s82                                   // 00000000326C: D2850006 0000A505
	v_readlane_b32 s82, v3, 19                                 // 000000003274: D2890052 00012703
	s_and_b32 s82, s82, 0xffffff                               // 00000000327C: 8652FF52 00FFFFFF
	v_mul_lo_u32 v7, v4, s82                                   // 000000003284: D2850007 0000A504
	v_add_u32_e32 v59, v6, v7                                  // 00000000328C: 68760F06
	v_mul_lo_u32 v59, v59, s68                                 // 000000003290: D285003B 0000893B
	v_and_b32_e32 v4, 31, v0                                   // 000000003298: 2608009F
	v_lshlrev_b32_e32 v4, 2, v4                                // 00000000329C: 24080882
	v_add_u32_e32 v50, v50, v4                                 // 0000000032A0: 68640932
	v_add_u32_e32 v51, v51, v4                                 // 0000000032A4: 68660933
	v_add_u32_e32 v52, v52, v4                                 // 0000000032A8: 68680934
	v_add_u32_e32 v53, v53, v4                                 // 0000000032AC: 686A0935
	v_add_u32_e32 v54, v54, v4                                 // 0000000032B0: 686C0936
	v_add_u32_e32 v55, v55, v4                                 // 0000000032B4: 686E0937
	v_add_u32_e32 v56, v56, v4                                 // 0000000032B8: 68700938
	v_add_u32_e32 v57, v57, v4                                 // 0000000032BC: 68720939
	v_add_u32_e32 v58, v58, v4                                 // 0000000032C0: 6874093A
	v_add_u32_e32 v59, v59, v4                                 // 0000000032C4: 6876093B
	v_and_b32_e32 v30, 0xffffff, v30                           // 0000000032C8: 263C3CFF 00FFFFFF
	v_lshlrev_b32_e32 v30, 2, v30                              // 0000000032D0: 243C3C82
	v_and_b32_e32 v31, 0xffffff, v31                           // 0000000032D4: 263E3EFF 00FFFFFF
	v_lshlrev_b32_e32 v31, 2, v31                              // 0000000032DC: 243E3E82
	v_and_b32_e32 v32, 0xffffff, v32                           // 0000000032E0: 264040FF 00FFFFFF
	v_lshlrev_b32_e32 v32, 2, v32                              // 0000000032E8: 24404082
	v_and_b32_e32 v33, 0xffffff, v33                           // 0000000032EC: 264242FF 00FFFFFF
	v_lshlrev_b32_e32 v33, 2, v33                              // 0000000032F4: 24424282
	v_and_b32_e32 v34, 0xffffff, v34                           // 0000000032F8: 264444FF 00FFFFFF
	v_lshlrev_b32_e32 v34, 2, v34                              // 000000003300: 24444482
	s_lshl_b32 s3, s66, 2                                      // 000000003304: 8E038242
	buffer_load_dword v35, v30, s[28:31], 0 offen              // 000000003308: E0501000 8007231E
	buffer_load_dword v36, v31, s[28:31], 0 offen              // 000000003310: E0501000 8007241F
	buffer_load_dword v37, v32, s[28:31], 0 offen              // 000000003318: E0501000 80072520
	buffer_load_dword v38, v33, s[28:31], 0 offen              // 000000003320: E0501000 80072621
	;; [unrolled: 1-line block ×4, first 2 shown]
	s_mul_i32 s60, 4, s65                                      // 000000003338: 923C4184
	s_add_u32 s32, s60, s32                                    // 00000000333C: 8020203C
	s_addc_u32 s33, 0, s33                                     // 000000003340: 82212180
	buffer_load_dword v27, v22, s[32:35], 0 offen              // 000000003344: E0501000 80081B16
	buffer_load_dword v50, s[20:23], 0 offen lds               // 00000000334C: E0511000 80050032
	s_add_u32 m0, 0x100, s48                                   // 000000003354: 807C30FF 00000100
	buffer_load_dword v51, s[20:23], 0 offen lds               // 00000000335C: E0511000 80050033
	s_add_u32 m0, 0x200, s48                                   // 000000003364: 807C30FF 00000200
	buffer_load_dword v52, s[20:23], 0 offen lds               // 00000000336C: E0511000 80050034
	s_add_u32 m0, 0x300, s48                                   // 000000003374: 807C30FF 00000300
	buffer_load_dword v53, s[20:23], 0 offen lds               // 00000000337C: E0511000 80050035
	s_add_u32 m0, 0x400, s48                                   // 000000003384: 807C30FF 00000400
	buffer_load_dword v54, s[20:23], 0 offen lds               // 00000000338C: E0511000 80050036
	s_add_u32 m0, 0x500, s48                                   // 000000003394: 807C30FF 00000500
	buffer_load_dword v55, s[20:23], 0 offen lds               // 00000000339C: E0511000 80050037
	s_add_u32 m0, 0x600, s48                                   // 0000000033A4: 807C30FF 00000600
	buffer_load_dword v56, s[20:23], 0 offen lds               // 0000000033AC: E0511000 80050038
	s_add_u32 m0, 0x700, s48                                   // 0000000033B4: 807C30FF 00000700
	buffer_load_dword v57, s[20:23], 0 offen lds               // 0000000033BC: E0511000 80050039
	s_add_u32 m0, 0x800, s48                                   // 0000000033C4: 807C30FF 00000800
	buffer_load_dword v58, s[20:23], 0 offen lds               // 0000000033CC: E0511000 8005003A
	s_add_u32 m0, 0x900, s48                                   // 0000000033D4: 807C30FF 00000900
	buffer_load_dword v59, s[20:23], 0 offen lds               // 0000000033DC: E0511000 8005003B
	s_add_u32 m0, 0, s49                                       // 0000000033E4: 807C3180
	s_add_u32 s20, s57, s20                                    // 0000000033E8: 80141439
	s_addc_u32 s21, 0, s21                                     // 0000000033EC: 82151580
	buffer_load_dwordx4 a[80:83], v60, s[24:27], 0 offen       // 0000000033F0: E05C1000 8086503C
	buffer_load_dwordx4 a[84:87], v60, s[24:27], 0 offen offset:1024// 0000000033F8: E05C1400 8086543C
	buffer_load_dwordx4 a[88:91], v61, s[24:27], 0 offen       // 000000003400: E05C1000 8086583D
	buffer_load_dwordx4 a[92:95], v61, s[24:27], 0 offen offset:1024// 000000003408: E05C1400 80865C3D
	s_add_u32 s24, s58, s24                                    // 000000003410: 8018183A
	s_addc_u32 s25, 0, s25                                     // 000000003414: 82191980
	buffer_load_dword v50, s[20:23], 0 offen lds               // 000000003418: E0511000 80050032
	s_add_u32 m0, 0x100, s49                                   // 000000003420: 807C31FF 00000100
	buffer_load_dword v51, s[20:23], 0 offen lds               // 000000003428: E0511000 80050033
	s_add_u32 m0, 0x200, s49                                   // 000000003430: 807C31FF 00000200
	;; [unrolled: 2-line block ×8, first 2 shown]
	buffer_load_dword v58, s[20:23], 0 offen lds               // 000000003498: E0511000 8005003A
	s_add_u32 m0, 0x900, s49                                   // 0000000034A0: 807C31FF 00000900
	buffer_load_dword v59, s[20:23], 0 offen lds               // 0000000034A8: E0511000 8005003B
	s_add_u32 m0, 0, s50                                       // 0000000034B0: 807C3280
	s_add_u32 s20, s57, s20                                    // 0000000034B4: 80141439
	s_addc_u32 s21, 0, s21                                     // 0000000034B8: 82151580
	buffer_load_dwordx4 a[96:99], v60, s[84:87], 0 offen       // 0000000034BC: E05C1000 8095603C
	buffer_load_dwordx4 a[100:103], v60, s[84:87], 0 offen offset:1024// 0000000034C4: E05C1400 8095643C
	buffer_load_dwordx4 a[104:107], v61, s[84:87], 0 offen     // 0000000034CC: E05C1000 8095683D
	buffer_load_dwordx4 a[108:111], v61, s[84:87], 0 offen offset:1024// 0000000034D4: E05C1400 80956C3D
	s_add_u32 s84, s83, s84                                    // 0000000034DC: 80545453
	s_addc_u32 s85, 0, s85                                     // 0000000034E0: 82555580
	s_waitcnt vmcnt(18)                                        // 0000000034E4: BF8C4F72
	s_barrier                                                  // 0000000034E8: BF8A0000
	ds_read_b128 a[0:3], v2                                    // 0000000034EC: DBFE0000 00000002
	ds_read_b128 a[4:7], v2 offset:64                          // 0000000034F4: DBFE0040 04000002
	ds_read_b128 a[8:11], v2 offset:512                        // 0000000034FC: DBFE0200 08000002
	ds_read_b128 a[12:15], v2 offset:576                       // 000000003504: DBFE0240 0C000002
	ds_read_b128 a[16:19], v2 offset:1024                      // 00000000350C: DBFE0400 10000002
	ds_read_b128 a[20:23], v2 offset:1088                      // 000000003514: DBFE0440 14000002
	ds_read_b128 a[24:27], v2 offset:1536                      // 00000000351C: DBFE0600 18000002
	ds_read_b128 a[28:31], v2 offset:1600                      // 000000003524: DBFE0640 1C000002
	ds_read_b128 a[32:35], v2 offset:2048                      // 00000000352C: DBFE0800 20000002
	ds_read_b128 a[36:39], v2 offset:2112                      // 000000003534: DBFE0840 24000002
	s_cmp_lt_i32 s7, 2                                         // 00000000353C: BF048207
	s_cbranch_scc0 label_14E7                                  // 000000003540: BF841213

0000000000003544 <label_02D1>:
	s_waitcnt vmcnt(14) lgkmcnt(0)                             // 000000003544: BF8C007E
	v_mfma_f32_16x16x32_fp8_fp8 v[64:67], a[80:81], a[0:1], v[64:67]// 000000003548: D3F30040 1D020150
	v_mfma_f32_16x16x32_fp8_fp8 v[64:67], a[82:83], a[2:3], v[64:67]// 000000003550: D3F30040 1D020552
	buffer_load_dwordx4 a[112:115], v60, s[24:27], 0 offen     // 000000003558: E05C1000 8086703C
	v_mfma_f32_16x16x32_fp8_fp8 v[64:67], a[84:85], a[4:5], v[64:67]// 000000003560: D3F30040 1D020954
	v_mfma_f32_16x16x32_fp8_fp8 v[64:67], a[86:87], a[6:7], v[64:67]// 000000003568: D3F30040 1D020D56
	v_mfma_f32_16x16x32_fp8_fp8 v[84:87], a[88:89], a[0:1], v[84:87]// 000000003570: D3F30054 1D520158
	v_mfma_f32_16x16x32_fp8_fp8 v[84:87], a[90:91], a[2:3], v[84:87]// 000000003578: D3F30054 1D52055A
	buffer_load_dwordx4 a[116:119], v60, s[24:27], 0 offen offset:1024// 000000003580: E05C1400 8086743C
	v_mfma_f32_16x16x32_fp8_fp8 v[84:87], a[92:93], a[4:5], v[84:87]// 000000003588: D3F30054 1D52095C
	v_mfma_f32_16x16x32_fp8_fp8 v[84:87], a[94:95], a[6:7], v[84:87]// 000000003590: D3F30054 1D520D5E
	v_mfma_f32_16x16x32_fp8_fp8 v[68:71], a[80:81], a[8:9], v[68:71]// 000000003598: D3F30044 1D121150
	v_mfma_f32_16x16x32_fp8_fp8 v[68:71], a[82:83], a[10:11], v[68:71]// 0000000035A0: D3F30044 1D121552
	buffer_load_dwordx4 a[120:123], v61, s[24:27], 0 offen     // 0000000035A8: E05C1000 8086783D
	v_mfma_f32_16x16x32_fp8_fp8 v[68:71], a[84:85], a[12:13], v[68:71]// 0000000035B0: D3F30044 1D121954
	v_mfma_f32_16x16x32_fp8_fp8 v[68:71], a[86:87], a[14:15], v[68:71]// 0000000035B8: D3F30044 1D121D56
	v_mfma_f32_16x16x32_fp8_fp8 v[88:91], a[88:89], a[8:9], v[88:91]// 0000000035C0: D3F30058 1D621158
	v_mfma_f32_16x16x32_fp8_fp8 v[88:91], a[90:91], a[10:11], v[88:91]// 0000000035C8: D3F30058 1D62155A
	buffer_load_dwordx4 a[124:127], v61, s[24:27], 0 offen offset:1024// 0000000035D0: E05C1400 80867C3D
	buffer_load_dword v50, s[20:23], 0 offen lds               // 0000000035D8: E0511000 80050032
	s_add_u32 m0, 0x100, s50                                   // 0000000035E0: 807C32FF 00000100
	v_mfma_f32_16x16x32_fp8_fp8 v[88:91], a[92:93], a[12:13], v[88:91]// 0000000035E8: D3F30058 1D62195C
	v_mfma_f32_16x16x32_fp8_fp8 v[88:91], a[94:95], a[14:15], v[88:91]// 0000000035F0: D3F30058 1D621D5E
	buffer_load_dword v51, s[20:23], 0 offen lds               // 0000000035F8: E0511000 80050033
	s_add_u32 m0, 0x200, s50                                   // 000000003600: 807C32FF 00000200
	v_mfma_f32_16x16x32_fp8_fp8 v[72:75], a[80:81], a[16:17], v[72:75]// 000000003608: D3F30048 1D222150
	v_mfma_f32_16x16x32_fp8_fp8 v[72:75], a[82:83], a[18:19], v[72:75]// 000000003610: D3F30048 1D222552
	buffer_load_dword v52, s[20:23], 0 offen lds               // 000000003618: E0511000 80050034
	s_add_u32 m0, 0x300, s50                                   // 000000003620: 807C32FF 00000300
	v_mfma_f32_16x16x32_fp8_fp8 v[72:75], a[84:85], a[20:21], v[72:75]// 000000003628: D3F30048 1D222954
	v_mfma_f32_16x16x32_fp8_fp8 v[72:75], a[86:87], a[22:23], v[72:75]// 000000003630: D3F30048 1D222D56
	buffer_load_dword v53, s[20:23], 0 offen lds               // 000000003638: E0511000 80050035
	s_add_u32 m0, 0x400, s50                                   // 000000003640: 807C32FF 00000400
	v_mfma_f32_16x16x32_fp8_fp8 v[92:95], a[88:89], a[16:17], v[92:95]// 000000003648: D3F3005C 1D722158
	v_mfma_f32_16x16x32_fp8_fp8 v[92:95], a[90:91], a[18:19], v[92:95]// 000000003650: D3F3005C 1D72255A
	buffer_load_dword v54, s[20:23], 0 offen lds               // 000000003658: E0511000 80050036
	s_add_u32 m0, 0x500, s50                                   // 000000003660: 807C32FF 00000500
	v_mfma_f32_16x16x32_fp8_fp8 v[92:95], a[92:93], a[20:21], v[92:95]// 000000003668: D3F3005C 1D72295C
	v_mfma_f32_16x16x32_fp8_fp8 v[92:95], a[94:95], a[22:23], v[92:95]// 000000003670: D3F3005C 1D722D5E
	buffer_load_dword v55, s[20:23], 0 offen lds               // 000000003678: E0511000 80050037
	s_add_u32 m0, 0x600, s50                                   // 000000003680: 807C32FF 00000600
	v_mfma_f32_16x16x32_fp8_fp8 v[76:79], a[80:81], a[24:25], v[76:79]// 000000003688: D3F3004C 1D323150
	v_mfma_f32_16x16x32_fp8_fp8 v[76:79], a[82:83], a[26:27], v[76:79]// 000000003690: D3F3004C 1D323552
	buffer_load_dword v56, s[20:23], 0 offen lds               // 000000003698: E0511000 80050038
	s_add_u32 m0, 0x700, s50                                   // 0000000036A0: 807C32FF 00000700
	v_mfma_f32_16x16x32_fp8_fp8 v[76:79], a[84:85], a[28:29], v[76:79]// 0000000036A8: D3F3004C 1D323954
	v_mfma_f32_16x16x32_fp8_fp8 v[76:79], a[86:87], a[30:31], v[76:79]// 0000000036B0: D3F3004C 1D323D56
	buffer_load_dword v57, s[20:23], 0 offen lds               // 0000000036B8: E0511000 80050039
	s_add_u32 m0, 0x800, s50                                   // 0000000036C0: 807C32FF 00000800
	v_mfma_f32_16x16x32_fp8_fp8 v[96:99], a[88:89], a[24:25], v[96:99]// 0000000036C8: D3F30060 1D823158
	v_mfma_f32_16x16x32_fp8_fp8 v[96:99], a[90:91], a[26:27], v[96:99]// 0000000036D0: D3F30060 1D82355A
	buffer_load_dword v58, s[20:23], 0 offen lds               // 0000000036D8: E0511000 8005003A
	s_add_u32 m0, 0x900, s50                                   // 0000000036E0: 807C32FF 00000900
	v_mfma_f32_16x16x32_fp8_fp8 v[96:99], a[92:93], a[28:29], v[96:99]// 0000000036E8: D3F30060 1D82395C
	v_mfma_f32_16x16x32_fp8_fp8 v[96:99], a[94:95], a[30:31], v[96:99]// 0000000036F0: D3F30060 1D823D5E
	buffer_load_dword v59, s[20:23], 0 offen lds               // 0000000036F8: E0511000 8005003B
	s_add_u32 m0, 0, s48                                       // 000000003700: 807C3080
	v_mfma_f32_16x16x32_fp8_fp8 v[80:83], a[80:81], a[32:33], v[80:83]// 000000003704: D3F30050 1D424150
	v_mfma_f32_16x16x32_fp8_fp8 v[80:83], a[82:83], a[34:35], v[80:83]// 00000000370C: D3F30050 1D424552
	v_mfma_f32_16x16x32_fp8_fp8 v[80:83], a[84:85], a[36:37], v[80:83]// 000000003714: D3F30050 1D424954
	v_mfma_f32_16x16x32_fp8_fp8 v[80:83], a[86:87], a[38:39], v[80:83]// 00000000371C: D3F30050 1D424D56
	v_mfma_f32_16x16x32_fp8_fp8 v[100:103], a[88:89], a[32:33], v[100:103]// 000000003724: D3F30064 1D924158
	v_mfma_f32_16x16x32_fp8_fp8 v[100:103], a[90:91], a[34:35], v[100:103]// 00000000372C: D3F30064 1D92455A
	v_mfma_f32_16x16x32_fp8_fp8 v[100:103], a[92:93], a[36:37], v[100:103]// 000000003734: D3F30064 1D92495C
	v_mfma_f32_16x16x32_fp8_fp8 v[100:103], a[94:95], a[38:39], v[100:103]// 00000000373C: D3F30064 1D924D5E
	s_waitcnt vmcnt(14)                                        // 000000003744: BF8C0F7E
	s_barrier                                                  // 000000003748: BF8A0000
	v_mfma_f32_16x16x32_fp8_fp8 v[104:107], a[96:97], a[0:1], v[104:107]// 00000000374C: D3F30068 1DA20160
	v_mfma_f32_16x16x32_fp8_fp8 v[104:107], a[98:99], a[2:3], v[104:107]// 000000003754: D3F30068 1DA20562
	buffer_load_dwordx4 a[80:83], v60, s[84:87], 0 offen       // 00000000375C: E05C1000 8095503C
	v_mfma_f32_16x16x32_fp8_fp8 v[104:107], a[100:101], a[4:5], v[104:107]// 000000003764: D3F30068 1DA20964
	v_mfma_f32_16x16x32_fp8_fp8 v[104:107], a[102:103], a[6:7], v[104:107]// 00000000376C: D3F30068 1DA20D66
	ds_read_b128 a[40:43], v2 offset:10368                     // 000000003774: DBFE2880 28000002
	ds_read_b128 a[44:47], v2 offset:10432                     // 00000000377C: DBFE28C0 2C000002
	v_mfma_f32_16x16x32_fp8_fp8 v[124:127], a[104:105], a[0:1], v[124:127]// 000000003784: D3F3007C 1DF20168
	v_mfma_f32_16x16x32_fp8_fp8 v[124:127], a[106:107], a[2:3], v[124:127]// 00000000378C: D3F3007C 1DF2056A
	buffer_load_dwordx4 a[84:87], v60, s[84:87], 0 offen offset:1024// 000000003794: E05C1400 8095543C
	v_mfma_f32_16x16x32_fp8_fp8 v[124:127], a[108:109], a[4:5], v[124:127]// 00000000379C: D3F3007C 1DF2096C
	v_mfma_f32_16x16x32_fp8_fp8 v[124:127], a[110:111], a[6:7], v[124:127]// 0000000037A4: D3F3007C 1DF20D6E
	ds_read_b128 a[48:51], v2 offset:10880                     // 0000000037AC: DBFE2A80 30000002
	ds_read_b128 a[52:55], v2 offset:10944                     // 0000000037B4: DBFE2AC0 34000002
	v_mfma_f32_16x16x32_fp8_fp8 v[108:111], a[96:97], a[8:9], v[108:111]// 0000000037BC: D3F3006C 1DB21160
	v_mfma_f32_16x16x32_fp8_fp8 v[108:111], a[98:99], a[10:11], v[108:111]// 0000000037C4: D3F3006C 1DB21562
	buffer_load_dwordx4 a[88:91], v61, s[84:87], 0 offen       // 0000000037CC: E05C1000 8095583D
	v_mfma_f32_16x16x32_fp8_fp8 v[108:111], a[100:101], a[12:13], v[108:111]// 0000000037D4: D3F3006C 1DB21964
	v_mfma_f32_16x16x32_fp8_fp8 v[108:111], a[102:103], a[14:15], v[108:111]// 0000000037DC: D3F3006C 1DB21D66
	ds_read_b128 a[56:59], v2 offset:11392                     // 0000000037E4: DBFE2C80 38000002
	ds_read_b128 a[60:63], v2 offset:11456                     // 0000000037EC: DBFE2CC0 3C000002
	v_mfma_f32_16x16x32_fp8_fp8 v[128:131], a[104:105], a[8:9], v[128:131]// 0000000037F4: D3F30080 1E021168
	v_mfma_f32_16x16x32_fp8_fp8 v[128:131], a[106:107], a[10:11], v[128:131]// 0000000037FC: D3F30080 1E02156A
	buffer_load_dwordx4 a[92:95], v61, s[84:87], 0 offen offset:1024// 000000003804: E05C1400 80955C3D
	v_mfma_f32_16x16x32_fp8_fp8 v[128:131], a[108:109], a[12:13], v[128:131]// 00000000380C: D3F30080 1E02196C
	v_mfma_f32_16x16x32_fp8_fp8 v[128:131], a[110:111], a[14:15], v[128:131]// 000000003814: D3F30080 1E021D6E
	ds_read_b128 a[64:67], v2 offset:11904                     // 00000000381C: DBFE2E80 40000002
	ds_read_b128 a[68:71], v2 offset:11968                     // 000000003824: DBFE2EC0 44000002
	v_mfma_f32_16x16x32_fp8_fp8 v[112:115], a[96:97], a[16:17], v[112:115]// 00000000382C: D3F30070 1DC22160
	v_mfma_f32_16x16x32_fp8_fp8 v[112:115], a[98:99], a[18:19], v[112:115]// 000000003834: D3F30070 1DC22562
	v_mfma_f32_16x16x32_fp8_fp8 v[112:115], a[100:101], a[20:21], v[112:115]// 00000000383C: D3F30070 1DC22964
	v_mfma_f32_16x16x32_fp8_fp8 v[112:115], a[102:103], a[22:23], v[112:115]// 000000003844: D3F30070 1DC22D66
	ds_read_b128 a[72:75], v2 offset:12416                     // 00000000384C: DBFE3080 48000002
	ds_read_b128 a[76:79], v2 offset:12480                     // 000000003854: DBFE30C0 4C000002
	v_mfma_f32_16x16x32_fp8_fp8 v[132:135], a[104:105], a[16:17], v[132:135]// 00000000385C: D3F30084 1E122168
	v_mfma_f32_16x16x32_fp8_fp8 v[132:135], a[106:107], a[18:19], v[132:135]// 000000003864: D3F30084 1E12256A
	v_mfma_f32_16x16x32_fp8_fp8 v[132:135], a[108:109], a[20:21], v[132:135]// 00000000386C: D3F30084 1E12296C
	v_mfma_f32_16x16x32_fp8_fp8 v[132:135], a[110:111], a[22:23], v[132:135]// 000000003874: D3F30084 1E122D6E
	v_mfma_f32_16x16x32_fp8_fp8 v[116:119], a[96:97], a[24:25], v[116:119]// 00000000387C: D3F30074 1DD23160
	v_mfma_f32_16x16x32_fp8_fp8 v[116:119], a[98:99], a[26:27], v[116:119]// 000000003884: D3F30074 1DD23562
	v_mfma_f32_16x16x32_fp8_fp8 v[116:119], a[100:101], a[28:29], v[116:119]// 00000000388C: D3F30074 1DD23964
	v_mfma_f32_16x16x32_fp8_fp8 v[116:119], a[102:103], a[30:31], v[116:119]// 000000003894: D3F30074 1DD23D66
	v_mfma_f32_16x16x32_fp8_fp8 v[136:139], a[104:105], a[24:25], v[136:139]// 00000000389C: D3F30088 1E223168
	v_mfma_f32_16x16x32_fp8_fp8 v[136:139], a[106:107], a[26:27], v[136:139]// 0000000038A4: D3F30088 1E22356A
	v_mfma_f32_16x16x32_fp8_fp8 v[136:139], a[108:109], a[28:29], v[136:139]// 0000000038AC: D3F30088 1E22396C
	v_mfma_f32_16x16x32_fp8_fp8 v[136:139], a[110:111], a[30:31], v[136:139]// 0000000038B4: D3F30088 1E223D6E
	v_mfma_f32_16x16x32_fp8_fp8 v[120:123], a[96:97], a[32:33], v[120:123]// 0000000038BC: D3F30078 1DE24160
	s_add_u32 s60, 0x180, s80                                  // 0000000038C4: 803C50FF 00000180
	s_cmp_lt_u32 s60, s81                                      // 0000000038CC: BF0A513C
	s_cselect_b32 s57, s57, 0                                  // 0000000038D0: 85398039
	v_mfma_f32_16x16x32_fp8_fp8 v[120:123], a[98:99], a[34:35], v[120:123]// 0000000038D4: D3F30078 1DE24562
	s_add_u32 s60, 0x100, s80                                  // 0000000038DC: 803C50FF 00000100
	s_cmp_lt_u32 s60, s81                                      // 0000000038E4: BF0A513C
	s_cselect_b32 s58, s58, 0                                  // 0000000038E8: 853A803A
	v_mfma_f32_16x16x32_fp8_fp8 v[120:123], a[100:101], a[36:37], v[120:123]// 0000000038EC: D3F30078 1DE24964
	s_add_u32 s60, 0x100, s80                                  // 0000000038F4: 803C50FF 00000100
	s_cmp_lt_u32 s60, s81                                      // 0000000038FC: BF0A513C
	s_cselect_b32 s83, s83, 0                                  // 000000003900: 85538053
	v_mfma_f32_16x16x32_fp8_fp8 v[120:123], a[102:103], a[38:39], v[120:123]// 000000003904: D3F30078 1DE24D66
	s_add_u32 s24, s58, s24                                    // 00000000390C: 8018183A
	s_addc_u32 s25, 0, s25                                     // 000000003910: 82191980
	v_mfma_f32_16x16x32_fp8_fp8 v[140:143], a[104:105], a[32:33], v[140:143]// 000000003914: D3F3008C 1E324168
	s_add_u32 s20, s57, s20                                    // 00000000391C: 80141439
	s_addc_u32 s21, 0, s21                                     // 000000003920: 82151580
	v_mfma_f32_16x16x32_fp8_fp8 v[140:143], a[106:107], a[34:35], v[140:143]// 000000003924: D3F3008C 1E32456A
	s_add_u32 s84, s83, s84                                    // 00000000392C: 80545453
	s_addc_u32 s85, 0, s85                                     // 000000003930: 82555580
	v_mfma_f32_16x16x32_fp8_fp8 v[140:143], a[108:109], a[36:37], v[140:143]// 000000003934: D3F3008C 1E32496C
	v_mfma_f32_16x16x32_fp8_fp8 v[140:143], a[110:111], a[38:39], v[140:143]// 00000000393C: D3F3008C 1E324D6E
	s_addk_i32 s80, 0x80                                       // 000000003944: B7500080
	s_cmp_lt_i32 s80, s81                                      // 000000003948: BF045150
	s_cbranch_scc0 label_08E4                                  // 00000000394C: BF840510
	s_waitcnt vmcnt(14) lgkmcnt(0)                             // 000000003950: BF8C007E
	v_mfma_f32_16x16x32_fp8_fp8 v[64:67], a[112:113], a[40:41], v[64:67]// 000000003954: D3F30040 1D025170
	v_mfma_f32_16x16x32_fp8_fp8 v[64:67], a[114:115], a[42:43], v[64:67]// 00000000395C: D3F30040 1D025572
	buffer_load_dwordx4 a[96:99], v60, s[24:27], 0 offen       // 000000003964: E05C1000 8086603C
	v_mfma_f32_16x16x32_fp8_fp8 v[64:67], a[116:117], a[44:45], v[64:67]// 00000000396C: D3F30040 1D025974
	v_mfma_f32_16x16x32_fp8_fp8 v[64:67], a[118:119], a[46:47], v[64:67]// 000000003974: D3F30040 1D025D76
	v_mfma_f32_16x16x32_fp8_fp8 v[84:87], a[120:121], a[40:41], v[84:87]// 00000000397C: D3F30054 1D525178
	v_mfma_f32_16x16x32_fp8_fp8 v[84:87], a[122:123], a[42:43], v[84:87]// 000000003984: D3F30054 1D52557A
	buffer_load_dwordx4 a[100:103], v60, s[24:27], 0 offen offset:1024// 00000000398C: E05C1400 8086643C
	v_mfma_f32_16x16x32_fp8_fp8 v[84:87], a[124:125], a[44:45], v[84:87]// 000000003994: D3F30054 1D52597C
	v_mfma_f32_16x16x32_fp8_fp8 v[84:87], a[126:127], a[46:47], v[84:87]// 00000000399C: D3F30054 1D525D7E
	v_mfma_f32_16x16x32_fp8_fp8 v[68:71], a[112:113], a[48:49], v[68:71]// 0000000039A4: D3F30044 1D126170
	v_mfma_f32_16x16x32_fp8_fp8 v[68:71], a[114:115], a[50:51], v[68:71]// 0000000039AC: D3F30044 1D126572
	buffer_load_dwordx4 a[104:107], v61, s[24:27], 0 offen     // 0000000039B4: E05C1000 8086683D
	v_mfma_f32_16x16x32_fp8_fp8 v[68:71], a[116:117], a[52:53], v[68:71]// 0000000039BC: D3F30044 1D126974
	v_mfma_f32_16x16x32_fp8_fp8 v[68:71], a[118:119], a[54:55], v[68:71]// 0000000039C4: D3F30044 1D126D76
	v_mfma_f32_16x16x32_fp8_fp8 v[88:91], a[120:121], a[48:49], v[88:91]// 0000000039CC: D3F30058 1D626178
	v_mfma_f32_16x16x32_fp8_fp8 v[88:91], a[122:123], a[50:51], v[88:91]// 0000000039D4: D3F30058 1D62657A
	buffer_load_dwordx4 a[108:111], v61, s[24:27], 0 offen offset:1024// 0000000039DC: E05C1400 80866C3D
	buffer_load_dword v50, s[20:23], 0 offen lds               // 0000000039E4: E0511000 80050032
	s_add_u32 m0, 0x100, s48                                   // 0000000039EC: 807C30FF 00000100
	v_mfma_f32_16x16x32_fp8_fp8 v[88:91], a[124:125], a[52:53], v[88:91]// 0000000039F4: D3F30058 1D62697C
	v_mfma_f32_16x16x32_fp8_fp8 v[88:91], a[126:127], a[54:55], v[88:91]// 0000000039FC: D3F30058 1D626D7E
	buffer_load_dword v51, s[20:23], 0 offen lds               // 000000003A04: E0511000 80050033
	s_add_u32 m0, 0x200, s48                                   // 000000003A0C: 807C30FF 00000200
	v_mfma_f32_16x16x32_fp8_fp8 v[72:75], a[112:113], a[56:57], v[72:75]// 000000003A14: D3F30048 1D227170
	v_mfma_f32_16x16x32_fp8_fp8 v[72:75], a[114:115], a[58:59], v[72:75]// 000000003A1C: D3F30048 1D227572
	buffer_load_dword v52, s[20:23], 0 offen lds               // 000000003A24: E0511000 80050034
	s_add_u32 m0, 0x300, s48                                   // 000000003A2C: 807C30FF 00000300
	v_mfma_f32_16x16x32_fp8_fp8 v[72:75], a[116:117], a[60:61], v[72:75]// 000000003A34: D3F30048 1D227974
	v_mfma_f32_16x16x32_fp8_fp8 v[72:75], a[118:119], a[62:63], v[72:75]// 000000003A3C: D3F30048 1D227D76
	buffer_load_dword v53, s[20:23], 0 offen lds               // 000000003A44: E0511000 80050035
	s_add_u32 m0, 0x400, s48                                   // 000000003A4C: 807C30FF 00000400
	v_mfma_f32_16x16x32_fp8_fp8 v[92:95], a[120:121], a[56:57], v[92:95]// 000000003A54: D3F3005C 1D727178
	v_mfma_f32_16x16x32_fp8_fp8 v[92:95], a[122:123], a[58:59], v[92:95]// 000000003A5C: D3F3005C 1D72757A
	buffer_load_dword v54, s[20:23], 0 offen lds               // 000000003A64: E0511000 80050036
	s_add_u32 m0, 0x500, s48                                   // 000000003A6C: 807C30FF 00000500
	v_mfma_f32_16x16x32_fp8_fp8 v[92:95], a[124:125], a[60:61], v[92:95]// 000000003A74: D3F3005C 1D72797C
	v_mfma_f32_16x16x32_fp8_fp8 v[92:95], a[126:127], a[62:63], v[92:95]// 000000003A7C: D3F3005C 1D727D7E
	buffer_load_dword v55, s[20:23], 0 offen lds               // 000000003A84: E0511000 80050037
	s_add_u32 m0, 0x600, s48                                   // 000000003A8C: 807C30FF 00000600
	v_mfma_f32_16x16x32_fp8_fp8 v[76:79], a[112:113], a[64:65], v[76:79]// 000000003A94: D3F3004C 1D328170
	v_mfma_f32_16x16x32_fp8_fp8 v[76:79], a[114:115], a[66:67], v[76:79]// 000000003A9C: D3F3004C 1D328572
	buffer_load_dword v56, s[20:23], 0 offen lds               // 000000003AA4: E0511000 80050038
	s_add_u32 m0, 0x700, s48                                   // 000000003AAC: 807C30FF 00000700
	v_mfma_f32_16x16x32_fp8_fp8 v[76:79], a[116:117], a[68:69], v[76:79]// 000000003AB4: D3F3004C 1D328974
	v_mfma_f32_16x16x32_fp8_fp8 v[76:79], a[118:119], a[70:71], v[76:79]// 000000003ABC: D3F3004C 1D328D76
	buffer_load_dword v57, s[20:23], 0 offen lds               // 000000003AC4: E0511000 80050039
	s_add_u32 m0, 0x800, s48                                   // 000000003ACC: 807C30FF 00000800
	v_mfma_f32_16x16x32_fp8_fp8 v[96:99], a[120:121], a[64:65], v[96:99]// 000000003AD4: D3F30060 1D828178
	v_mfma_f32_16x16x32_fp8_fp8 v[96:99], a[122:123], a[66:67], v[96:99]// 000000003ADC: D3F30060 1D82857A
	buffer_load_dword v58, s[20:23], 0 offen lds               // 000000003AE4: E0511000 8005003A
	s_add_u32 m0, 0x900, s48                                   // 000000003AEC: 807C30FF 00000900
	v_mfma_f32_16x16x32_fp8_fp8 v[96:99], a[124:125], a[68:69], v[96:99]// 000000003AF4: D3F30060 1D82897C
	v_mfma_f32_16x16x32_fp8_fp8 v[96:99], a[126:127], a[70:71], v[96:99]// 000000003AFC: D3F30060 1D828D7E
	buffer_load_dword v59, s[20:23], 0 offen lds               // 000000003B04: E0511000 8005003B
	s_add_u32 m0, 0, s49                                       // 000000003B0C: 807C3180
	v_mfma_f32_16x16x32_fp8_fp8 v[80:83], a[112:113], a[72:73], v[80:83]// 000000003B10: D3F30050 1D429170
	v_mfma_f32_16x16x32_fp8_fp8 v[80:83], a[114:115], a[74:75], v[80:83]// 000000003B18: D3F30050 1D429572
	v_mfma_f32_16x16x32_fp8_fp8 v[80:83], a[116:117], a[76:77], v[80:83]// 000000003B20: D3F30050 1D429974
	v_mfma_f32_16x16x32_fp8_fp8 v[80:83], a[118:119], a[78:79], v[80:83]// 000000003B28: D3F30050 1D429D76
	v_mfma_f32_16x16x32_fp8_fp8 v[100:103], a[120:121], a[72:73], v[100:103]// 000000003B30: D3F30064 1D929178
	v_mfma_f32_16x16x32_fp8_fp8 v[100:103], a[122:123], a[74:75], v[100:103]// 000000003B38: D3F30064 1D92957A
	v_mfma_f32_16x16x32_fp8_fp8 v[100:103], a[124:125], a[76:77], v[100:103]// 000000003B40: D3F30064 1D92997C
	v_mfma_f32_16x16x32_fp8_fp8 v[100:103], a[126:127], a[78:79], v[100:103]// 000000003B48: D3F30064 1D929D7E
	s_waitcnt vmcnt(14)                                        // 000000003B50: BF8C0F7E
	s_barrier                                                  // 000000003B54: BF8A0000
	v_mfma_f32_16x16x32_fp8_fp8 v[104:107], a[80:81], a[40:41], v[104:107]// 000000003B58: D3F30068 1DA25150
	v_mfma_f32_16x16x32_fp8_fp8 v[104:107], a[82:83], a[42:43], v[104:107]// 000000003B60: D3F30068 1DA25552
	buffer_load_dwordx4 a[112:115], v60, s[84:87], 0 offen     // 000000003B68: E05C1000 8095703C
	v_mfma_f32_16x16x32_fp8_fp8 v[104:107], a[84:85], a[44:45], v[104:107]// 000000003B70: D3F30068 1DA25954
	v_mfma_f32_16x16x32_fp8_fp8 v[104:107], a[86:87], a[46:47], v[104:107]// 000000003B78: D3F30068 1DA25D56
	ds_read_b128 a[0:3], v2 offset:20736                       // 000000003B80: DBFE5100 00000002
	ds_read_b128 a[4:7], v2 offset:20800                       // 000000003B88: DBFE5140 04000002
	v_mfma_f32_16x16x32_fp8_fp8 v[124:127], a[88:89], a[40:41], v[124:127]// 000000003B90: D3F3007C 1DF25158
	v_mfma_f32_16x16x32_fp8_fp8 v[124:127], a[90:91], a[42:43], v[124:127]// 000000003B98: D3F3007C 1DF2555A
	buffer_load_dwordx4 a[116:119], v60, s[84:87], 0 offen offset:1024// 000000003BA0: E05C1400 8095743C
	v_mfma_f32_16x16x32_fp8_fp8 v[124:127], a[92:93], a[44:45], v[124:127]// 000000003BA8: D3F3007C 1DF2595C
	v_mfma_f32_16x16x32_fp8_fp8 v[124:127], a[94:95], a[46:47], v[124:127]// 000000003BB0: D3F3007C 1DF25D5E
	ds_read_b128 a[8:11], v2 offset:21248                      // 000000003BB8: DBFE5300 08000002
	ds_read_b128 a[12:15], v2 offset:21312                     // 000000003BC0: DBFE5340 0C000002
	v_mfma_f32_16x16x32_fp8_fp8 v[108:111], a[80:81], a[48:49], v[108:111]// 000000003BC8: D3F3006C 1DB26150
	v_mfma_f32_16x16x32_fp8_fp8 v[108:111], a[82:83], a[50:51], v[108:111]// 000000003BD0: D3F3006C 1DB26552
	buffer_load_dwordx4 a[120:123], v61, s[84:87], 0 offen     // 000000003BD8: E05C1000 8095783D
	v_mfma_f32_16x16x32_fp8_fp8 v[108:111], a[84:85], a[52:53], v[108:111]// 000000003BE0: D3F3006C 1DB26954
	v_mfma_f32_16x16x32_fp8_fp8 v[108:111], a[86:87], a[54:55], v[108:111]// 000000003BE8: D3F3006C 1DB26D56
	ds_read_b128 a[16:19], v2 offset:21760                     // 000000003BF0: DBFE5500 10000002
	ds_read_b128 a[20:23], v2 offset:21824                     // 000000003BF8: DBFE5540 14000002
	v_mfma_f32_16x16x32_fp8_fp8 v[128:131], a[88:89], a[48:49], v[128:131]// 000000003C00: D3F30080 1E026158
	v_mfma_f32_16x16x32_fp8_fp8 v[128:131], a[90:91], a[50:51], v[128:131]// 000000003C08: D3F30080 1E02655A
	buffer_load_dwordx4 a[124:127], v61, s[84:87], 0 offen offset:1024// 000000003C10: E05C1400 80957C3D
	v_mfma_f32_16x16x32_fp8_fp8 v[128:131], a[92:93], a[52:53], v[128:131]// 000000003C18: D3F30080 1E02695C
	v_mfma_f32_16x16x32_fp8_fp8 v[128:131], a[94:95], a[54:55], v[128:131]// 000000003C20: D3F30080 1E026D5E
	ds_read_b128 a[24:27], v2 offset:22272                     // 000000003C28: DBFE5700 18000002
	ds_read_b128 a[28:31], v2 offset:22336                     // 000000003C30: DBFE5740 1C000002
	v_mfma_f32_16x16x32_fp8_fp8 v[112:115], a[80:81], a[56:57], v[112:115]// 000000003C38: D3F30070 1DC27150
	v_mfma_f32_16x16x32_fp8_fp8 v[112:115], a[82:83], a[58:59], v[112:115]// 000000003C40: D3F30070 1DC27552
	v_mfma_f32_16x16x32_fp8_fp8 v[112:115], a[84:85], a[60:61], v[112:115]// 000000003C48: D3F30070 1DC27954
	v_mfma_f32_16x16x32_fp8_fp8 v[112:115], a[86:87], a[62:63], v[112:115]// 000000003C50: D3F30070 1DC27D56
	ds_read_b128 a[32:35], v2 offset:22784                     // 000000003C58: DBFE5900 20000002
	ds_read_b128 a[36:39], v2 offset:22848                     // 000000003C60: DBFE5940 24000002
	v_mfma_f32_16x16x32_fp8_fp8 v[132:135], a[88:89], a[56:57], v[132:135]// 000000003C68: D3F30084 1E127158
	v_mfma_f32_16x16x32_fp8_fp8 v[132:135], a[90:91], a[58:59], v[132:135]// 000000003C70: D3F30084 1E12755A
	v_mfma_f32_16x16x32_fp8_fp8 v[132:135], a[92:93], a[60:61], v[132:135]// 000000003C78: D3F30084 1E12795C
	v_mfma_f32_16x16x32_fp8_fp8 v[132:135], a[94:95], a[62:63], v[132:135]// 000000003C80: D3F30084 1E127D5E
	v_mfma_f32_16x16x32_fp8_fp8 v[116:119], a[80:81], a[64:65], v[116:119]// 000000003C88: D3F30074 1DD28150
	v_mfma_f32_16x16x32_fp8_fp8 v[116:119], a[82:83], a[66:67], v[116:119]// 000000003C90: D3F30074 1DD28552
	v_mfma_f32_16x16x32_fp8_fp8 v[116:119], a[84:85], a[68:69], v[116:119]// 000000003C98: D3F30074 1DD28954
	v_mfma_f32_16x16x32_fp8_fp8 v[116:119], a[86:87], a[70:71], v[116:119]// 000000003CA0: D3F30074 1DD28D56
	v_mfma_f32_16x16x32_fp8_fp8 v[136:139], a[88:89], a[64:65], v[136:139]// 000000003CA8: D3F30088 1E228158
	v_mfma_f32_16x16x32_fp8_fp8 v[136:139], a[90:91], a[66:67], v[136:139]// 000000003CB0: D3F30088 1E22855A
	v_mfma_f32_16x16x32_fp8_fp8 v[136:139], a[92:93], a[68:69], v[136:139]// 000000003CB8: D3F30088 1E22895C
	v_mfma_f32_16x16x32_fp8_fp8 v[136:139], a[94:95], a[70:71], v[136:139]// 000000003CC0: D3F30088 1E228D5E
	v_mfma_f32_16x16x32_fp8_fp8 v[120:123], a[80:81], a[72:73], v[120:123]// 000000003CC8: D3F30078 1DE29150
	s_add_u32 s60, 0x180, s80                                  // 000000003CD0: 803C50FF 00000180
	s_cmp_lt_u32 s60, s81                                      // 000000003CD8: BF0A513C
	s_cselect_b32 s57, s57, 0                                  // 000000003CDC: 85398039
	v_mfma_f32_16x16x32_fp8_fp8 v[120:123], a[82:83], a[74:75], v[120:123]// 000000003CE0: D3F30078 1DE29552
	s_add_u32 s60, 0x100, s80                                  // 000000003CE8: 803C50FF 00000100
	s_cmp_lt_u32 s60, s81                                      // 000000003CF0: BF0A513C
	s_cselect_b32 s58, s58, 0                                  // 000000003CF4: 853A803A
	v_mfma_f32_16x16x32_fp8_fp8 v[120:123], a[84:85], a[76:77], v[120:123]// 000000003CF8: D3F30078 1DE29954
	s_add_u32 s60, 0x100, s80                                  // 000000003D00: 803C50FF 00000100
	s_cmp_lt_u32 s60, s81                                      // 000000003D08: BF0A513C
	s_cselect_b32 s83, s83, 0                                  // 000000003D0C: 85538053
	v_mfma_f32_16x16x32_fp8_fp8 v[120:123], a[86:87], a[78:79], v[120:123]// 000000003D10: D3F30078 1DE29D56
	s_add_u32 s24, s58, s24                                    // 000000003D18: 8018183A
	s_addc_u32 s25, 0, s25                                     // 000000003D1C: 82191980
	v_mfma_f32_16x16x32_fp8_fp8 v[140:143], a[88:89], a[72:73], v[140:143]// 000000003D20: D3F3008C 1E329158
	s_add_u32 s20, s57, s20                                    // 000000003D28: 80141439
	s_addc_u32 s21, 0, s21                                     // 000000003D2C: 82151580
	v_mfma_f32_16x16x32_fp8_fp8 v[140:143], a[90:91], a[74:75], v[140:143]// 000000003D30: D3F3008C 1E32955A
	s_add_u32 s84, s83, s84                                    // 000000003D38: 80545453
	s_addc_u32 s85, 0, s85                                     // 000000003D3C: 82555580
	v_mfma_f32_16x16x32_fp8_fp8 v[140:143], a[92:93], a[76:77], v[140:143]// 000000003D40: D3F3008C 1E32995C
	v_mfma_f32_16x16x32_fp8_fp8 v[140:143], a[94:95], a[78:79], v[140:143]// 000000003D48: D3F3008C 1E329D5E
	s_addk_i32 s80, 0x80                                       // 000000003D50: B7500080
	s_cmp_lt_i32 s80, s81                                      // 000000003D54: BF045150
	s_cbranch_scc0 label_08E4                                  // 000000003D58: BF84040D
	s_waitcnt vmcnt(14) lgkmcnt(0)                             // 000000003D5C: BF8C007E
	v_mfma_f32_16x16x32_fp8_fp8 v[64:67], a[96:97], a[0:1], v[64:67]// 000000003D60: D3F30040 1D020160
	v_mfma_f32_16x16x32_fp8_fp8 v[64:67], a[98:99], a[2:3], v[64:67]// 000000003D68: D3F30040 1D020562
	buffer_load_dwordx4 a[80:83], v60, s[24:27], 0 offen       // 000000003D70: E05C1000 8086503C
	v_mfma_f32_16x16x32_fp8_fp8 v[64:67], a[100:101], a[4:5], v[64:67]// 000000003D78: D3F30040 1D020964
	v_mfma_f32_16x16x32_fp8_fp8 v[64:67], a[102:103], a[6:7], v[64:67]// 000000003D80: D3F30040 1D020D66
	v_mfma_f32_16x16x32_fp8_fp8 v[84:87], a[104:105], a[0:1], v[84:87]// 000000003D88: D3F30054 1D520168
	v_mfma_f32_16x16x32_fp8_fp8 v[84:87], a[106:107], a[2:3], v[84:87]// 000000003D90: D3F30054 1D52056A
	buffer_load_dwordx4 a[84:87], v60, s[24:27], 0 offen offset:1024// 000000003D98: E05C1400 8086543C
	v_mfma_f32_16x16x32_fp8_fp8 v[84:87], a[108:109], a[4:5], v[84:87]// 000000003DA0: D3F30054 1D52096C
	v_mfma_f32_16x16x32_fp8_fp8 v[84:87], a[110:111], a[6:7], v[84:87]// 000000003DA8: D3F30054 1D520D6E
	v_mfma_f32_16x16x32_fp8_fp8 v[68:71], a[96:97], a[8:9], v[68:71]// 000000003DB0: D3F30044 1D121160
	v_mfma_f32_16x16x32_fp8_fp8 v[68:71], a[98:99], a[10:11], v[68:71]// 000000003DB8: D3F30044 1D121562
	buffer_load_dwordx4 a[88:91], v61, s[24:27], 0 offen       // 000000003DC0: E05C1000 8086583D
	v_mfma_f32_16x16x32_fp8_fp8 v[68:71], a[100:101], a[12:13], v[68:71]// 000000003DC8: D3F30044 1D121964
	v_mfma_f32_16x16x32_fp8_fp8 v[68:71], a[102:103], a[14:15], v[68:71]// 000000003DD0: D3F30044 1D121D66
	v_mfma_f32_16x16x32_fp8_fp8 v[88:91], a[104:105], a[8:9], v[88:91]// 000000003DD8: D3F30058 1D621168
	v_mfma_f32_16x16x32_fp8_fp8 v[88:91], a[106:107], a[10:11], v[88:91]// 000000003DE0: D3F30058 1D62156A
	buffer_load_dwordx4 a[92:95], v61, s[24:27], 0 offen offset:1024// 000000003DE8: E05C1400 80865C3D
	buffer_load_dword v50, s[20:23], 0 offen lds               // 000000003DF0: E0511000 80050032
	s_add_u32 m0, 0x100, s49                                   // 000000003DF8: 807C31FF 00000100
	v_mfma_f32_16x16x32_fp8_fp8 v[88:91], a[108:109], a[12:13], v[88:91]// 000000003E00: D3F30058 1D62196C
	v_mfma_f32_16x16x32_fp8_fp8 v[88:91], a[110:111], a[14:15], v[88:91]// 000000003E08: D3F30058 1D621D6E
	buffer_load_dword v51, s[20:23], 0 offen lds               // 000000003E10: E0511000 80050033
	s_add_u32 m0, 0x200, s49                                   // 000000003E18: 807C31FF 00000200
	v_mfma_f32_16x16x32_fp8_fp8 v[72:75], a[96:97], a[16:17], v[72:75]// 000000003E20: D3F30048 1D222160
	v_mfma_f32_16x16x32_fp8_fp8 v[72:75], a[98:99], a[18:19], v[72:75]// 000000003E28: D3F30048 1D222562
	buffer_load_dword v52, s[20:23], 0 offen lds               // 000000003E30: E0511000 80050034
	s_add_u32 m0, 0x300, s49                                   // 000000003E38: 807C31FF 00000300
	v_mfma_f32_16x16x32_fp8_fp8 v[72:75], a[100:101], a[20:21], v[72:75]// 000000003E40: D3F30048 1D222964
	v_mfma_f32_16x16x32_fp8_fp8 v[72:75], a[102:103], a[22:23], v[72:75]// 000000003E48: D3F30048 1D222D66
	buffer_load_dword v53, s[20:23], 0 offen lds               // 000000003E50: E0511000 80050035
	s_add_u32 m0, 0x400, s49                                   // 000000003E58: 807C31FF 00000400
	v_mfma_f32_16x16x32_fp8_fp8 v[92:95], a[104:105], a[16:17], v[92:95]// 000000003E60: D3F3005C 1D722168
	v_mfma_f32_16x16x32_fp8_fp8 v[92:95], a[106:107], a[18:19], v[92:95]// 000000003E68: D3F3005C 1D72256A
	buffer_load_dword v54, s[20:23], 0 offen lds               // 000000003E70: E0511000 80050036
	s_add_u32 m0, 0x500, s49                                   // 000000003E78: 807C31FF 00000500
	v_mfma_f32_16x16x32_fp8_fp8 v[92:95], a[108:109], a[20:21], v[92:95]// 000000003E80: D3F3005C 1D72296C
	v_mfma_f32_16x16x32_fp8_fp8 v[92:95], a[110:111], a[22:23], v[92:95]// 000000003E88: D3F3005C 1D722D6E
	buffer_load_dword v55, s[20:23], 0 offen lds               // 000000003E90: E0511000 80050037
	s_add_u32 m0, 0x600, s49                                   // 000000003E98: 807C31FF 00000600
	v_mfma_f32_16x16x32_fp8_fp8 v[76:79], a[96:97], a[24:25], v[76:79]// 000000003EA0: D3F3004C 1D323160
	v_mfma_f32_16x16x32_fp8_fp8 v[76:79], a[98:99], a[26:27], v[76:79]// 000000003EA8: D3F3004C 1D323562
	buffer_load_dword v56, s[20:23], 0 offen lds               // 000000003EB0: E0511000 80050038
	s_add_u32 m0, 0x700, s49                                   // 000000003EB8: 807C31FF 00000700
	v_mfma_f32_16x16x32_fp8_fp8 v[76:79], a[100:101], a[28:29], v[76:79]// 000000003EC0: D3F3004C 1D323964
	v_mfma_f32_16x16x32_fp8_fp8 v[76:79], a[102:103], a[30:31], v[76:79]// 000000003EC8: D3F3004C 1D323D66
	buffer_load_dword v57, s[20:23], 0 offen lds               // 000000003ED0: E0511000 80050039
	s_add_u32 m0, 0x800, s49                                   // 000000003ED8: 807C31FF 00000800
	v_mfma_f32_16x16x32_fp8_fp8 v[96:99], a[104:105], a[24:25], v[96:99]// 000000003EE0: D3F30060 1D823168
	v_mfma_f32_16x16x32_fp8_fp8 v[96:99], a[106:107], a[26:27], v[96:99]// 000000003EE8: D3F30060 1D82356A
	buffer_load_dword v58, s[20:23], 0 offen lds               // 000000003EF0: E0511000 8005003A
	s_add_u32 m0, 0x900, s49                                   // 000000003EF8: 807C31FF 00000900
	v_mfma_f32_16x16x32_fp8_fp8 v[96:99], a[108:109], a[28:29], v[96:99]// 000000003F00: D3F30060 1D82396C
	v_mfma_f32_16x16x32_fp8_fp8 v[96:99], a[110:111], a[30:31], v[96:99]// 000000003F08: D3F30060 1D823D6E
	buffer_load_dword v59, s[20:23], 0 offen lds               // 000000003F10: E0511000 8005003B
	s_add_u32 m0, 0, s50                                       // 000000003F18: 807C3280
	v_mfma_f32_16x16x32_fp8_fp8 v[80:83], a[96:97], a[32:33], v[80:83]// 000000003F1C: D3F30050 1D424160
	v_mfma_f32_16x16x32_fp8_fp8 v[80:83], a[98:99], a[34:35], v[80:83]// 000000003F24: D3F30050 1D424562
	v_mfma_f32_16x16x32_fp8_fp8 v[80:83], a[100:101], a[36:37], v[80:83]// 000000003F2C: D3F30050 1D424964
	v_mfma_f32_16x16x32_fp8_fp8 v[80:83], a[102:103], a[38:39], v[80:83]// 000000003F34: D3F30050 1D424D66
	v_mfma_f32_16x16x32_fp8_fp8 v[100:103], a[104:105], a[32:33], v[100:103]// 000000003F3C: D3F30064 1D924168
	v_mfma_f32_16x16x32_fp8_fp8 v[100:103], a[106:107], a[34:35], v[100:103]// 000000003F44: D3F30064 1D92456A
	v_mfma_f32_16x16x32_fp8_fp8 v[100:103], a[108:109], a[36:37], v[100:103]// 000000003F4C: D3F30064 1D92496C
	v_mfma_f32_16x16x32_fp8_fp8 v[100:103], a[110:111], a[38:39], v[100:103]// 000000003F54: D3F30064 1D924D6E
	s_waitcnt vmcnt(14)                                        // 000000003F5C: BF8C0F7E
	s_barrier                                                  // 000000003F60: BF8A0000
	v_mfma_f32_16x16x32_fp8_fp8 v[104:107], a[112:113], a[0:1], v[104:107]// 000000003F64: D3F30068 1DA20170
	v_mfma_f32_16x16x32_fp8_fp8 v[104:107], a[114:115], a[2:3], v[104:107]// 000000003F6C: D3F30068 1DA20572
	buffer_load_dwordx4 a[96:99], v60, s[84:87], 0 offen       // 000000003F74: E05C1000 8095603C
	v_mfma_f32_16x16x32_fp8_fp8 v[104:107], a[116:117], a[4:5], v[104:107]// 000000003F7C: D3F30068 1DA20974
	v_mfma_f32_16x16x32_fp8_fp8 v[104:107], a[118:119], a[6:7], v[104:107]// 000000003F84: D3F30068 1DA20D76
	ds_read_b128 a[40:43], v2                                  // 000000003F8C: DBFE0000 28000002
	ds_read_b128 a[44:47], v2 offset:64                        // 000000003F94: DBFE0040 2C000002
	v_mfma_f32_16x16x32_fp8_fp8 v[124:127], a[120:121], a[0:1], v[124:127]// 000000003F9C: D3F3007C 1DF20178
	v_mfma_f32_16x16x32_fp8_fp8 v[124:127], a[122:123], a[2:3], v[124:127]// 000000003FA4: D3F3007C 1DF2057A
	buffer_load_dwordx4 a[100:103], v60, s[84:87], 0 offen offset:1024// 000000003FAC: E05C1400 8095643C
	v_mfma_f32_16x16x32_fp8_fp8 v[124:127], a[124:125], a[4:5], v[124:127]// 000000003FB4: D3F3007C 1DF2097C
	v_mfma_f32_16x16x32_fp8_fp8 v[124:127], a[126:127], a[6:7], v[124:127]// 000000003FBC: D3F3007C 1DF20D7E
	ds_read_b128 a[48:51], v2 offset:512                       // 000000003FC4: DBFE0200 30000002
	ds_read_b128 a[52:55], v2 offset:576                       // 000000003FCC: DBFE0240 34000002
	v_mfma_f32_16x16x32_fp8_fp8 v[108:111], a[112:113], a[8:9], v[108:111]// 000000003FD4: D3F3006C 1DB21170
	v_mfma_f32_16x16x32_fp8_fp8 v[108:111], a[114:115], a[10:11], v[108:111]// 000000003FDC: D3F3006C 1DB21572
	buffer_load_dwordx4 a[104:107], v61, s[84:87], 0 offen     // 000000003FE4: E05C1000 8095683D
	v_mfma_f32_16x16x32_fp8_fp8 v[108:111], a[116:117], a[12:13], v[108:111]// 000000003FEC: D3F3006C 1DB21974
	v_mfma_f32_16x16x32_fp8_fp8 v[108:111], a[118:119], a[14:15], v[108:111]// 000000003FF4: D3F3006C 1DB21D76
	ds_read_b128 a[56:59], v2 offset:1024                      // 000000003FFC: DBFE0400 38000002
	ds_read_b128 a[60:63], v2 offset:1088                      // 000000004004: DBFE0440 3C000002
	v_mfma_f32_16x16x32_fp8_fp8 v[128:131], a[120:121], a[8:9], v[128:131]// 00000000400C: D3F30080 1E021178
	v_mfma_f32_16x16x32_fp8_fp8 v[128:131], a[122:123], a[10:11], v[128:131]// 000000004014: D3F30080 1E02157A
	buffer_load_dwordx4 a[108:111], v61, s[84:87], 0 offen offset:1024// 00000000401C: E05C1400 80956C3D
	v_mfma_f32_16x16x32_fp8_fp8 v[128:131], a[124:125], a[12:13], v[128:131]// 000000004024: D3F30080 1E02197C
	v_mfma_f32_16x16x32_fp8_fp8 v[128:131], a[126:127], a[14:15], v[128:131]// 00000000402C: D3F30080 1E021D7E
	ds_read_b128 a[64:67], v2 offset:1536                      // 000000004034: DBFE0600 40000002
	ds_read_b128 a[68:71], v2 offset:1600                      // 00000000403C: DBFE0640 44000002
	v_mfma_f32_16x16x32_fp8_fp8 v[112:115], a[112:113], a[16:17], v[112:115]// 000000004044: D3F30070 1DC22170
	v_mfma_f32_16x16x32_fp8_fp8 v[112:115], a[114:115], a[18:19], v[112:115]// 00000000404C: D3F30070 1DC22572
	v_mfma_f32_16x16x32_fp8_fp8 v[112:115], a[116:117], a[20:21], v[112:115]// 000000004054: D3F30070 1DC22974
	v_mfma_f32_16x16x32_fp8_fp8 v[112:115], a[118:119], a[22:23], v[112:115]// 00000000405C: D3F30070 1DC22D76
	ds_read_b128 a[72:75], v2 offset:2048                      // 000000004064: DBFE0800 48000002
	ds_read_b128 a[76:79], v2 offset:2112                      // 00000000406C: DBFE0840 4C000002
	v_mfma_f32_16x16x32_fp8_fp8 v[132:135], a[120:121], a[16:17], v[132:135]// 000000004074: D3F30084 1E122178
	v_mfma_f32_16x16x32_fp8_fp8 v[132:135], a[122:123], a[18:19], v[132:135]// 00000000407C: D3F30084 1E12257A
	v_mfma_f32_16x16x32_fp8_fp8 v[132:135], a[124:125], a[20:21], v[132:135]// 000000004084: D3F30084 1E12297C
	v_mfma_f32_16x16x32_fp8_fp8 v[132:135], a[126:127], a[22:23], v[132:135]// 00000000408C: D3F30084 1E122D7E
	v_mfma_f32_16x16x32_fp8_fp8 v[116:119], a[112:113], a[24:25], v[116:119]// 000000004094: D3F30074 1DD23170
	v_mfma_f32_16x16x32_fp8_fp8 v[116:119], a[114:115], a[26:27], v[116:119]// 00000000409C: D3F30074 1DD23572
	v_mfma_f32_16x16x32_fp8_fp8 v[116:119], a[116:117], a[28:29], v[116:119]// 0000000040A4: D3F30074 1DD23974
	v_mfma_f32_16x16x32_fp8_fp8 v[116:119], a[118:119], a[30:31], v[116:119]// 0000000040AC: D3F30074 1DD23D76
	v_mfma_f32_16x16x32_fp8_fp8 v[136:139], a[120:121], a[24:25], v[136:139]// 0000000040B4: D3F30088 1E223178
	v_mfma_f32_16x16x32_fp8_fp8 v[136:139], a[122:123], a[26:27], v[136:139]// 0000000040BC: D3F30088 1E22357A
	v_mfma_f32_16x16x32_fp8_fp8 v[136:139], a[124:125], a[28:29], v[136:139]// 0000000040C4: D3F30088 1E22397C
	v_mfma_f32_16x16x32_fp8_fp8 v[136:139], a[126:127], a[30:31], v[136:139]// 0000000040CC: D3F30088 1E223D7E
	v_mfma_f32_16x16x32_fp8_fp8 v[120:123], a[112:113], a[32:33], v[120:123]// 0000000040D4: D3F30078 1DE24170
	s_add_u32 s60, 0x180, s80                                  // 0000000040DC: 803C50FF 00000180
	s_cmp_lt_u32 s60, s81                                      // 0000000040E4: BF0A513C
	s_cselect_b32 s57, s57, 0                                  // 0000000040E8: 85398039
	v_mfma_f32_16x16x32_fp8_fp8 v[120:123], a[114:115], a[34:35], v[120:123]// 0000000040EC: D3F30078 1DE24572
	s_add_u32 s60, 0x100, s80                                  // 0000000040F4: 803C50FF 00000100
	s_cmp_lt_u32 s60, s81                                      // 0000000040FC: BF0A513C
	s_cselect_b32 s58, s58, 0                                  // 000000004100: 853A803A
	v_mfma_f32_16x16x32_fp8_fp8 v[120:123], a[116:117], a[36:37], v[120:123]// 000000004104: D3F30078 1DE24974
	s_add_u32 s60, 0x100, s80                                  // 00000000410C: 803C50FF 00000100
	s_cmp_lt_u32 s60, s81                                      // 000000004114: BF0A513C
	s_cselect_b32 s83, s83, 0                                  // 000000004118: 85538053
	v_mfma_f32_16x16x32_fp8_fp8 v[120:123], a[118:119], a[38:39], v[120:123]// 00000000411C: D3F30078 1DE24D76
	s_add_u32 s24, s58, s24                                    // 000000004124: 8018183A
	s_addc_u32 s25, 0, s25                                     // 000000004128: 82191980
	v_mfma_f32_16x16x32_fp8_fp8 v[140:143], a[120:121], a[32:33], v[140:143]// 00000000412C: D3F3008C 1E324178
	s_add_u32 s20, s57, s20                                    // 000000004134: 80141439
	s_addc_u32 s21, 0, s21                                     // 000000004138: 82151580
	v_mfma_f32_16x16x32_fp8_fp8 v[140:143], a[122:123], a[34:35], v[140:143]// 00000000413C: D3F3008C 1E32457A
	s_add_u32 s84, s83, s84                                    // 000000004144: 80545453
	s_addc_u32 s85, 0, s85                                     // 000000004148: 82555580
	v_mfma_f32_16x16x32_fp8_fp8 v[140:143], a[124:125], a[36:37], v[140:143]// 00000000414C: D3F3008C 1E32497C
	v_mfma_f32_16x16x32_fp8_fp8 v[140:143], a[126:127], a[38:39], v[140:143]// 000000004154: D3F3008C 1E324D7E
	s_addk_i32 s80, 0x80                                       // 00000000415C: B7500080
	s_cmp_lt_i32 s80, s81                                      // 000000004160: BF045150
	s_cbranch_scc0 label_08E4                                  // 000000004164: BF84030A
	s_waitcnt vmcnt(14) lgkmcnt(0)                             // 000000004168: BF8C007E
	v_mfma_f32_16x16x32_fp8_fp8 v[64:67], a[80:81], a[40:41], v[64:67]// 00000000416C: D3F30040 1D025150
	v_mfma_f32_16x16x32_fp8_fp8 v[64:67], a[82:83], a[42:43], v[64:67]// 000000004174: D3F30040 1D025552
	buffer_load_dwordx4 a[112:115], v60, s[24:27], 0 offen     // 00000000417C: E05C1000 8086703C
	v_mfma_f32_16x16x32_fp8_fp8 v[64:67], a[84:85], a[44:45], v[64:67]// 000000004184: D3F30040 1D025954
	v_mfma_f32_16x16x32_fp8_fp8 v[64:67], a[86:87], a[46:47], v[64:67]// 00000000418C: D3F30040 1D025D56
	v_mfma_f32_16x16x32_fp8_fp8 v[84:87], a[88:89], a[40:41], v[84:87]// 000000004194: D3F30054 1D525158
	v_mfma_f32_16x16x32_fp8_fp8 v[84:87], a[90:91], a[42:43], v[84:87]// 00000000419C: D3F30054 1D52555A
	buffer_load_dwordx4 a[116:119], v60, s[24:27], 0 offen offset:1024// 0000000041A4: E05C1400 8086743C
	v_mfma_f32_16x16x32_fp8_fp8 v[84:87], a[92:93], a[44:45], v[84:87]// 0000000041AC: D3F30054 1D52595C
	v_mfma_f32_16x16x32_fp8_fp8 v[84:87], a[94:95], a[46:47], v[84:87]// 0000000041B4: D3F30054 1D525D5E
	v_mfma_f32_16x16x32_fp8_fp8 v[68:71], a[80:81], a[48:49], v[68:71]// 0000000041BC: D3F30044 1D126150
	v_mfma_f32_16x16x32_fp8_fp8 v[68:71], a[82:83], a[50:51], v[68:71]// 0000000041C4: D3F30044 1D126552
	buffer_load_dwordx4 a[120:123], v61, s[24:27], 0 offen     // 0000000041CC: E05C1000 8086783D
	v_mfma_f32_16x16x32_fp8_fp8 v[68:71], a[84:85], a[52:53], v[68:71]// 0000000041D4: D3F30044 1D126954
	v_mfma_f32_16x16x32_fp8_fp8 v[68:71], a[86:87], a[54:55], v[68:71]// 0000000041DC: D3F30044 1D126D56
	v_mfma_f32_16x16x32_fp8_fp8 v[88:91], a[88:89], a[48:49], v[88:91]// 0000000041E4: D3F30058 1D626158
	v_mfma_f32_16x16x32_fp8_fp8 v[88:91], a[90:91], a[50:51], v[88:91]// 0000000041EC: D3F30058 1D62655A
	buffer_load_dwordx4 a[124:127], v61, s[24:27], 0 offen offset:1024// 0000000041F4: E05C1400 80867C3D
	buffer_load_dword v50, s[20:23], 0 offen lds               // 0000000041FC: E0511000 80050032
	s_add_u32 m0, 0x100, s50                                   // 000000004204: 807C32FF 00000100
	v_mfma_f32_16x16x32_fp8_fp8 v[88:91], a[92:93], a[52:53], v[88:91]// 00000000420C: D3F30058 1D62695C
	v_mfma_f32_16x16x32_fp8_fp8 v[88:91], a[94:95], a[54:55], v[88:91]// 000000004214: D3F30058 1D626D5E
	buffer_load_dword v51, s[20:23], 0 offen lds               // 00000000421C: E0511000 80050033
	s_add_u32 m0, 0x200, s50                                   // 000000004224: 807C32FF 00000200
	v_mfma_f32_16x16x32_fp8_fp8 v[72:75], a[80:81], a[56:57], v[72:75]// 00000000422C: D3F30048 1D227150
	v_mfma_f32_16x16x32_fp8_fp8 v[72:75], a[82:83], a[58:59], v[72:75]// 000000004234: D3F30048 1D227552
	buffer_load_dword v52, s[20:23], 0 offen lds               // 00000000423C: E0511000 80050034
	s_add_u32 m0, 0x300, s50                                   // 000000004244: 807C32FF 00000300
	v_mfma_f32_16x16x32_fp8_fp8 v[72:75], a[84:85], a[60:61], v[72:75]// 00000000424C: D3F30048 1D227954
	v_mfma_f32_16x16x32_fp8_fp8 v[72:75], a[86:87], a[62:63], v[72:75]// 000000004254: D3F30048 1D227D56
	buffer_load_dword v53, s[20:23], 0 offen lds               // 00000000425C: E0511000 80050035
	s_add_u32 m0, 0x400, s50                                   // 000000004264: 807C32FF 00000400
	v_mfma_f32_16x16x32_fp8_fp8 v[92:95], a[88:89], a[56:57], v[92:95]// 00000000426C: D3F3005C 1D727158
	v_mfma_f32_16x16x32_fp8_fp8 v[92:95], a[90:91], a[58:59], v[92:95]// 000000004274: D3F3005C 1D72755A
	buffer_load_dword v54, s[20:23], 0 offen lds               // 00000000427C: E0511000 80050036
	s_add_u32 m0, 0x500, s50                                   // 000000004284: 807C32FF 00000500
	v_mfma_f32_16x16x32_fp8_fp8 v[92:95], a[92:93], a[60:61], v[92:95]// 00000000428C: D3F3005C 1D72795C
	v_mfma_f32_16x16x32_fp8_fp8 v[92:95], a[94:95], a[62:63], v[92:95]// 000000004294: D3F3005C 1D727D5E
	buffer_load_dword v55, s[20:23], 0 offen lds               // 00000000429C: E0511000 80050037
	s_add_u32 m0, 0x600, s50                                   // 0000000042A4: 807C32FF 00000600
	v_mfma_f32_16x16x32_fp8_fp8 v[76:79], a[80:81], a[64:65], v[76:79]// 0000000042AC: D3F3004C 1D328150
	v_mfma_f32_16x16x32_fp8_fp8 v[76:79], a[82:83], a[66:67], v[76:79]// 0000000042B4: D3F3004C 1D328552
	buffer_load_dword v56, s[20:23], 0 offen lds               // 0000000042BC: E0511000 80050038
	s_add_u32 m0, 0x700, s50                                   // 0000000042C4: 807C32FF 00000700
	v_mfma_f32_16x16x32_fp8_fp8 v[76:79], a[84:85], a[68:69], v[76:79]// 0000000042CC: D3F3004C 1D328954
	v_mfma_f32_16x16x32_fp8_fp8 v[76:79], a[86:87], a[70:71], v[76:79]// 0000000042D4: D3F3004C 1D328D56
	buffer_load_dword v57, s[20:23], 0 offen lds               // 0000000042DC: E0511000 80050039
	s_add_u32 m0, 0x800, s50                                   // 0000000042E4: 807C32FF 00000800
	v_mfma_f32_16x16x32_fp8_fp8 v[96:99], a[88:89], a[64:65], v[96:99]// 0000000042EC: D3F30060 1D828158
	v_mfma_f32_16x16x32_fp8_fp8 v[96:99], a[90:91], a[66:67], v[96:99]// 0000000042F4: D3F30060 1D82855A
	buffer_load_dword v58, s[20:23], 0 offen lds               // 0000000042FC: E0511000 8005003A
	s_add_u32 m0, 0x900, s50                                   // 000000004304: 807C32FF 00000900
	v_mfma_f32_16x16x32_fp8_fp8 v[96:99], a[92:93], a[68:69], v[96:99]// 00000000430C: D3F30060 1D82895C
	v_mfma_f32_16x16x32_fp8_fp8 v[96:99], a[94:95], a[70:71], v[96:99]// 000000004314: D3F30060 1D828D5E
	buffer_load_dword v59, s[20:23], 0 offen lds               // 00000000431C: E0511000 8005003B
	s_add_u32 m0, 0, s48                                       // 000000004324: 807C3080
	v_mfma_f32_16x16x32_fp8_fp8 v[80:83], a[80:81], a[72:73], v[80:83]// 000000004328: D3F30050 1D429150
	v_mfma_f32_16x16x32_fp8_fp8 v[80:83], a[82:83], a[74:75], v[80:83]// 000000004330: D3F30050 1D429552
	v_mfma_f32_16x16x32_fp8_fp8 v[80:83], a[84:85], a[76:77], v[80:83]// 000000004338: D3F30050 1D429954
	v_mfma_f32_16x16x32_fp8_fp8 v[80:83], a[86:87], a[78:79], v[80:83]// 000000004340: D3F30050 1D429D56
	v_mfma_f32_16x16x32_fp8_fp8 v[100:103], a[88:89], a[72:73], v[100:103]// 000000004348: D3F30064 1D929158
	v_mfma_f32_16x16x32_fp8_fp8 v[100:103], a[90:91], a[74:75], v[100:103]// 000000004350: D3F30064 1D92955A
	v_mfma_f32_16x16x32_fp8_fp8 v[100:103], a[92:93], a[76:77], v[100:103]// 000000004358: D3F30064 1D92995C
	v_mfma_f32_16x16x32_fp8_fp8 v[100:103], a[94:95], a[78:79], v[100:103]// 000000004360: D3F30064 1D929D5E
	s_waitcnt vmcnt(14)                                        // 000000004368: BF8C0F7E
	s_barrier                                                  // 00000000436C: BF8A0000
	v_mfma_f32_16x16x32_fp8_fp8 v[104:107], a[96:97], a[40:41], v[104:107]// 000000004370: D3F30068 1DA25160
	v_mfma_f32_16x16x32_fp8_fp8 v[104:107], a[98:99], a[42:43], v[104:107]// 000000004378: D3F30068 1DA25562
	buffer_load_dwordx4 a[80:83], v60, s[84:87], 0 offen       // 000000004380: E05C1000 8095503C
	v_mfma_f32_16x16x32_fp8_fp8 v[104:107], a[100:101], a[44:45], v[104:107]// 000000004388: D3F30068 1DA25964
	v_mfma_f32_16x16x32_fp8_fp8 v[104:107], a[102:103], a[46:47], v[104:107]// 000000004390: D3F30068 1DA25D66
	ds_read_b128 a[0:3], v2 offset:10368                       // 000000004398: DBFE2880 00000002
	ds_read_b128 a[4:7], v2 offset:10432                       // 0000000043A0: DBFE28C0 04000002
	v_mfma_f32_16x16x32_fp8_fp8 v[124:127], a[104:105], a[40:41], v[124:127]// 0000000043A8: D3F3007C 1DF25168
	v_mfma_f32_16x16x32_fp8_fp8 v[124:127], a[106:107], a[42:43], v[124:127]// 0000000043B0: D3F3007C 1DF2556A
	buffer_load_dwordx4 a[84:87], v60, s[84:87], 0 offen offset:1024// 0000000043B8: E05C1400 8095543C
	v_mfma_f32_16x16x32_fp8_fp8 v[124:127], a[108:109], a[44:45], v[124:127]// 0000000043C0: D3F3007C 1DF2596C
	v_mfma_f32_16x16x32_fp8_fp8 v[124:127], a[110:111], a[46:47], v[124:127]// 0000000043C8: D3F3007C 1DF25D6E
	ds_read_b128 a[8:11], v2 offset:10880                      // 0000000043D0: DBFE2A80 08000002
	ds_read_b128 a[12:15], v2 offset:10944                     // 0000000043D8: DBFE2AC0 0C000002
	v_mfma_f32_16x16x32_fp8_fp8 v[108:111], a[96:97], a[48:49], v[108:111]// 0000000043E0: D3F3006C 1DB26160
	v_mfma_f32_16x16x32_fp8_fp8 v[108:111], a[98:99], a[50:51], v[108:111]// 0000000043E8: D3F3006C 1DB26562
	buffer_load_dwordx4 a[88:91], v61, s[84:87], 0 offen       // 0000000043F0: E05C1000 8095583D
	v_mfma_f32_16x16x32_fp8_fp8 v[108:111], a[100:101], a[52:53], v[108:111]// 0000000043F8: D3F3006C 1DB26964
	v_mfma_f32_16x16x32_fp8_fp8 v[108:111], a[102:103], a[54:55], v[108:111]// 000000004400: D3F3006C 1DB26D66
	ds_read_b128 a[16:19], v2 offset:11392                     // 000000004408: DBFE2C80 10000002
	ds_read_b128 a[20:23], v2 offset:11456                     // 000000004410: DBFE2CC0 14000002
	v_mfma_f32_16x16x32_fp8_fp8 v[128:131], a[104:105], a[48:49], v[128:131]// 000000004418: D3F30080 1E026168
	v_mfma_f32_16x16x32_fp8_fp8 v[128:131], a[106:107], a[50:51], v[128:131]// 000000004420: D3F30080 1E02656A
	buffer_load_dwordx4 a[92:95], v61, s[84:87], 0 offen offset:1024// 000000004428: E05C1400 80955C3D
	v_mfma_f32_16x16x32_fp8_fp8 v[128:131], a[108:109], a[52:53], v[128:131]// 000000004430: D3F30080 1E02696C
	v_mfma_f32_16x16x32_fp8_fp8 v[128:131], a[110:111], a[54:55], v[128:131]// 000000004438: D3F30080 1E026D6E
	ds_read_b128 a[24:27], v2 offset:11904                     // 000000004440: DBFE2E80 18000002
	ds_read_b128 a[28:31], v2 offset:11968                     // 000000004448: DBFE2EC0 1C000002
	v_mfma_f32_16x16x32_fp8_fp8 v[112:115], a[96:97], a[56:57], v[112:115]// 000000004450: D3F30070 1DC27160
	v_mfma_f32_16x16x32_fp8_fp8 v[112:115], a[98:99], a[58:59], v[112:115]// 000000004458: D3F30070 1DC27562
	v_mfma_f32_16x16x32_fp8_fp8 v[112:115], a[100:101], a[60:61], v[112:115]// 000000004460: D3F30070 1DC27964
	v_mfma_f32_16x16x32_fp8_fp8 v[112:115], a[102:103], a[62:63], v[112:115]// 000000004468: D3F30070 1DC27D66
	ds_read_b128 a[32:35], v2 offset:12416                     // 000000004470: DBFE3080 20000002
	ds_read_b128 a[36:39], v2 offset:12480                     // 000000004478: DBFE30C0 24000002
	v_mfma_f32_16x16x32_fp8_fp8 v[132:135], a[104:105], a[56:57], v[132:135]// 000000004480: D3F30084 1E127168
	v_mfma_f32_16x16x32_fp8_fp8 v[132:135], a[106:107], a[58:59], v[132:135]// 000000004488: D3F30084 1E12756A
	v_mfma_f32_16x16x32_fp8_fp8 v[132:135], a[108:109], a[60:61], v[132:135]// 000000004490: D3F30084 1E12796C
	v_mfma_f32_16x16x32_fp8_fp8 v[132:135], a[110:111], a[62:63], v[132:135]// 000000004498: D3F30084 1E127D6E
	v_mfma_f32_16x16x32_fp8_fp8 v[116:119], a[96:97], a[64:65], v[116:119]// 0000000044A0: D3F30074 1DD28160
	v_mfma_f32_16x16x32_fp8_fp8 v[116:119], a[98:99], a[66:67], v[116:119]// 0000000044A8: D3F30074 1DD28562
	v_mfma_f32_16x16x32_fp8_fp8 v[116:119], a[100:101], a[68:69], v[116:119]// 0000000044B0: D3F30074 1DD28964
	v_mfma_f32_16x16x32_fp8_fp8 v[116:119], a[102:103], a[70:71], v[116:119]// 0000000044B8: D3F30074 1DD28D66
	v_mfma_f32_16x16x32_fp8_fp8 v[136:139], a[104:105], a[64:65], v[136:139]// 0000000044C0: D3F30088 1E228168
	v_mfma_f32_16x16x32_fp8_fp8 v[136:139], a[106:107], a[66:67], v[136:139]// 0000000044C8: D3F30088 1E22856A
	v_mfma_f32_16x16x32_fp8_fp8 v[136:139], a[108:109], a[68:69], v[136:139]// 0000000044D0: D3F30088 1E22896C
	v_mfma_f32_16x16x32_fp8_fp8 v[136:139], a[110:111], a[70:71], v[136:139]// 0000000044D8: D3F30088 1E228D6E
	v_mfma_f32_16x16x32_fp8_fp8 v[120:123], a[96:97], a[72:73], v[120:123]// 0000000044E0: D3F30078 1DE29160
	s_add_u32 s60, 0x180, s80                                  // 0000000044E8: 803C50FF 00000180
	s_cmp_lt_u32 s60, s81                                      // 0000000044F0: BF0A513C
	s_cselect_b32 s57, s57, 0                                  // 0000000044F4: 85398039
	v_mfma_f32_16x16x32_fp8_fp8 v[120:123], a[98:99], a[74:75], v[120:123]// 0000000044F8: D3F30078 1DE29562
	s_add_u32 s60, 0x100, s80                                  // 000000004500: 803C50FF 00000100
	s_cmp_lt_u32 s60, s81                                      // 000000004508: BF0A513C
	s_cselect_b32 s58, s58, 0                                  // 00000000450C: 853A803A
	v_mfma_f32_16x16x32_fp8_fp8 v[120:123], a[100:101], a[76:77], v[120:123]// 000000004510: D3F30078 1DE29964
	s_add_u32 s60, 0x100, s80                                  // 000000004518: 803C50FF 00000100
	s_cmp_lt_u32 s60, s81                                      // 000000004520: BF0A513C
	s_cselect_b32 s83, s83, 0                                  // 000000004524: 85538053
	v_mfma_f32_16x16x32_fp8_fp8 v[120:123], a[102:103], a[78:79], v[120:123]// 000000004528: D3F30078 1DE29D66
	s_add_u32 s24, s58, s24                                    // 000000004530: 8018183A
	s_addc_u32 s25, 0, s25                                     // 000000004534: 82191980
	v_mfma_f32_16x16x32_fp8_fp8 v[140:143], a[104:105], a[72:73], v[140:143]// 000000004538: D3F3008C 1E329168
	s_add_u32 s20, s57, s20                                    // 000000004540: 80141439
	s_addc_u32 s21, 0, s21                                     // 000000004544: 82151580
	v_mfma_f32_16x16x32_fp8_fp8 v[140:143], a[106:107], a[74:75], v[140:143]// 000000004548: D3F3008C 1E32956A
	s_add_u32 s84, s83, s84                                    // 000000004550: 80545453
	s_addc_u32 s85, 0, s85                                     // 000000004554: 82555580
	v_mfma_f32_16x16x32_fp8_fp8 v[140:143], a[108:109], a[76:77], v[140:143]// 000000004558: D3F3008C 1E32996C
	v_mfma_f32_16x16x32_fp8_fp8 v[140:143], a[110:111], a[78:79], v[140:143]// 000000004560: D3F3008C 1E329D6E
	s_addk_i32 s80, 0x80                                       // 000000004568: B7500080
	s_cmp_lt_i32 s80, s81                                      // 00000000456C: BF045150
	s_cbranch_scc0 label_08E4                                  // 000000004570: BF840207
	s_waitcnt vmcnt(14) lgkmcnt(0)                             // 000000004574: BF8C007E
	v_mfma_f32_16x16x32_fp8_fp8 v[64:67], a[112:113], a[0:1], v[64:67]// 000000004578: D3F30040 1D020170
	v_mfma_f32_16x16x32_fp8_fp8 v[64:67], a[114:115], a[2:3], v[64:67]// 000000004580: D3F30040 1D020572
	buffer_load_dwordx4 a[96:99], v60, s[24:27], 0 offen       // 000000004588: E05C1000 8086603C
	v_mfma_f32_16x16x32_fp8_fp8 v[64:67], a[116:117], a[4:5], v[64:67]// 000000004590: D3F30040 1D020974
	v_mfma_f32_16x16x32_fp8_fp8 v[64:67], a[118:119], a[6:7], v[64:67]// 000000004598: D3F30040 1D020D76
	v_mfma_f32_16x16x32_fp8_fp8 v[84:87], a[120:121], a[0:1], v[84:87]// 0000000045A0: D3F30054 1D520178
	v_mfma_f32_16x16x32_fp8_fp8 v[84:87], a[122:123], a[2:3], v[84:87]// 0000000045A8: D3F30054 1D52057A
	buffer_load_dwordx4 a[100:103], v60, s[24:27], 0 offen offset:1024// 0000000045B0: E05C1400 8086643C
	v_mfma_f32_16x16x32_fp8_fp8 v[84:87], a[124:125], a[4:5], v[84:87]// 0000000045B8: D3F30054 1D52097C
	v_mfma_f32_16x16x32_fp8_fp8 v[84:87], a[126:127], a[6:7], v[84:87]// 0000000045C0: D3F30054 1D520D7E
	v_mfma_f32_16x16x32_fp8_fp8 v[68:71], a[112:113], a[8:9], v[68:71]// 0000000045C8: D3F30044 1D121170
	v_mfma_f32_16x16x32_fp8_fp8 v[68:71], a[114:115], a[10:11], v[68:71]// 0000000045D0: D3F30044 1D121572
	buffer_load_dwordx4 a[104:107], v61, s[24:27], 0 offen     // 0000000045D8: E05C1000 8086683D
	v_mfma_f32_16x16x32_fp8_fp8 v[68:71], a[116:117], a[12:13], v[68:71]// 0000000045E0: D3F30044 1D121974
	v_mfma_f32_16x16x32_fp8_fp8 v[68:71], a[118:119], a[14:15], v[68:71]// 0000000045E8: D3F30044 1D121D76
	v_mfma_f32_16x16x32_fp8_fp8 v[88:91], a[120:121], a[8:9], v[88:91]// 0000000045F0: D3F30058 1D621178
	v_mfma_f32_16x16x32_fp8_fp8 v[88:91], a[122:123], a[10:11], v[88:91]// 0000000045F8: D3F30058 1D62157A
	buffer_load_dwordx4 a[108:111], v61, s[24:27], 0 offen offset:1024// 000000004600: E05C1400 80866C3D
	buffer_load_dword v50, s[20:23], 0 offen lds               // 000000004608: E0511000 80050032
	s_add_u32 m0, 0x100, s48                                   // 000000004610: 807C30FF 00000100
	v_mfma_f32_16x16x32_fp8_fp8 v[88:91], a[124:125], a[12:13], v[88:91]// 000000004618: D3F30058 1D62197C
	v_mfma_f32_16x16x32_fp8_fp8 v[88:91], a[126:127], a[14:15], v[88:91]// 000000004620: D3F30058 1D621D7E
	buffer_load_dword v51, s[20:23], 0 offen lds               // 000000004628: E0511000 80050033
	s_add_u32 m0, 0x200, s48                                   // 000000004630: 807C30FF 00000200
	v_mfma_f32_16x16x32_fp8_fp8 v[72:75], a[112:113], a[16:17], v[72:75]// 000000004638: D3F30048 1D222170
	v_mfma_f32_16x16x32_fp8_fp8 v[72:75], a[114:115], a[18:19], v[72:75]// 000000004640: D3F30048 1D222572
	buffer_load_dword v52, s[20:23], 0 offen lds               // 000000004648: E0511000 80050034
	s_add_u32 m0, 0x300, s48                                   // 000000004650: 807C30FF 00000300
	v_mfma_f32_16x16x32_fp8_fp8 v[72:75], a[116:117], a[20:21], v[72:75]// 000000004658: D3F30048 1D222974
	v_mfma_f32_16x16x32_fp8_fp8 v[72:75], a[118:119], a[22:23], v[72:75]// 000000004660: D3F30048 1D222D76
	buffer_load_dword v53, s[20:23], 0 offen lds               // 000000004668: E0511000 80050035
	s_add_u32 m0, 0x400, s48                                   // 000000004670: 807C30FF 00000400
	v_mfma_f32_16x16x32_fp8_fp8 v[92:95], a[120:121], a[16:17], v[92:95]// 000000004678: D3F3005C 1D722178
	v_mfma_f32_16x16x32_fp8_fp8 v[92:95], a[122:123], a[18:19], v[92:95]// 000000004680: D3F3005C 1D72257A
	buffer_load_dword v54, s[20:23], 0 offen lds               // 000000004688: E0511000 80050036
	s_add_u32 m0, 0x500, s48                                   // 000000004690: 807C30FF 00000500
	v_mfma_f32_16x16x32_fp8_fp8 v[92:95], a[124:125], a[20:21], v[92:95]// 000000004698: D3F3005C 1D72297C
	v_mfma_f32_16x16x32_fp8_fp8 v[92:95], a[126:127], a[22:23], v[92:95]// 0000000046A0: D3F3005C 1D722D7E
	buffer_load_dword v55, s[20:23], 0 offen lds               // 0000000046A8: E0511000 80050037
	s_add_u32 m0, 0x600, s48                                   // 0000000046B0: 807C30FF 00000600
	v_mfma_f32_16x16x32_fp8_fp8 v[76:79], a[112:113], a[24:25], v[76:79]// 0000000046B8: D3F3004C 1D323170
	v_mfma_f32_16x16x32_fp8_fp8 v[76:79], a[114:115], a[26:27], v[76:79]// 0000000046C0: D3F3004C 1D323572
	buffer_load_dword v56, s[20:23], 0 offen lds               // 0000000046C8: E0511000 80050038
	s_add_u32 m0, 0x700, s48                                   // 0000000046D0: 807C30FF 00000700
	v_mfma_f32_16x16x32_fp8_fp8 v[76:79], a[116:117], a[28:29], v[76:79]// 0000000046D8: D3F3004C 1D323974
	v_mfma_f32_16x16x32_fp8_fp8 v[76:79], a[118:119], a[30:31], v[76:79]// 0000000046E0: D3F3004C 1D323D76
	buffer_load_dword v57, s[20:23], 0 offen lds               // 0000000046E8: E0511000 80050039
	s_add_u32 m0, 0x800, s48                                   // 0000000046F0: 807C30FF 00000800
	v_mfma_f32_16x16x32_fp8_fp8 v[96:99], a[120:121], a[24:25], v[96:99]// 0000000046F8: D3F30060 1D823178
	v_mfma_f32_16x16x32_fp8_fp8 v[96:99], a[122:123], a[26:27], v[96:99]// 000000004700: D3F30060 1D82357A
	buffer_load_dword v58, s[20:23], 0 offen lds               // 000000004708: E0511000 8005003A
	s_add_u32 m0, 0x900, s48                                   // 000000004710: 807C30FF 00000900
	v_mfma_f32_16x16x32_fp8_fp8 v[96:99], a[124:125], a[28:29], v[96:99]// 000000004718: D3F30060 1D82397C
	v_mfma_f32_16x16x32_fp8_fp8 v[96:99], a[126:127], a[30:31], v[96:99]// 000000004720: D3F30060 1D823D7E
	buffer_load_dword v59, s[20:23], 0 offen lds               // 000000004728: E0511000 8005003B
	s_add_u32 m0, 0, s49                                       // 000000004730: 807C3180
	v_mfma_f32_16x16x32_fp8_fp8 v[80:83], a[112:113], a[32:33], v[80:83]// 000000004734: D3F30050 1D424170
	v_mfma_f32_16x16x32_fp8_fp8 v[80:83], a[114:115], a[34:35], v[80:83]// 00000000473C: D3F30050 1D424572
	v_mfma_f32_16x16x32_fp8_fp8 v[80:83], a[116:117], a[36:37], v[80:83]// 000000004744: D3F30050 1D424974
	v_mfma_f32_16x16x32_fp8_fp8 v[80:83], a[118:119], a[38:39], v[80:83]// 00000000474C: D3F30050 1D424D76
	v_mfma_f32_16x16x32_fp8_fp8 v[100:103], a[120:121], a[32:33], v[100:103]// 000000004754: D3F30064 1D924178
	v_mfma_f32_16x16x32_fp8_fp8 v[100:103], a[122:123], a[34:35], v[100:103]// 00000000475C: D3F30064 1D92457A
	v_mfma_f32_16x16x32_fp8_fp8 v[100:103], a[124:125], a[36:37], v[100:103]// 000000004764: D3F30064 1D92497C
	v_mfma_f32_16x16x32_fp8_fp8 v[100:103], a[126:127], a[38:39], v[100:103]// 00000000476C: D3F30064 1D924D7E
	s_waitcnt vmcnt(14)                                        // 000000004774: BF8C0F7E
	s_barrier                                                  // 000000004778: BF8A0000
	v_mfma_f32_16x16x32_fp8_fp8 v[104:107], a[80:81], a[0:1], v[104:107]// 00000000477C: D3F30068 1DA20150
	v_mfma_f32_16x16x32_fp8_fp8 v[104:107], a[82:83], a[2:3], v[104:107]// 000000004784: D3F30068 1DA20552
	buffer_load_dwordx4 a[112:115], v60, s[84:87], 0 offen     // 00000000478C: E05C1000 8095703C
	v_mfma_f32_16x16x32_fp8_fp8 v[104:107], a[84:85], a[4:5], v[104:107]// 000000004794: D3F30068 1DA20954
	v_mfma_f32_16x16x32_fp8_fp8 v[104:107], a[86:87], a[6:7], v[104:107]// 00000000479C: D3F30068 1DA20D56
	ds_read_b128 a[40:43], v2 offset:20736                     // 0000000047A4: DBFE5100 28000002
	ds_read_b128 a[44:47], v2 offset:20800                     // 0000000047AC: DBFE5140 2C000002
	v_mfma_f32_16x16x32_fp8_fp8 v[124:127], a[88:89], a[0:1], v[124:127]// 0000000047B4: D3F3007C 1DF20158
	v_mfma_f32_16x16x32_fp8_fp8 v[124:127], a[90:91], a[2:3], v[124:127]// 0000000047BC: D3F3007C 1DF2055A
	buffer_load_dwordx4 a[116:119], v60, s[84:87], 0 offen offset:1024// 0000000047C4: E05C1400 8095743C
	v_mfma_f32_16x16x32_fp8_fp8 v[124:127], a[92:93], a[4:5], v[124:127]// 0000000047CC: D3F3007C 1DF2095C
	v_mfma_f32_16x16x32_fp8_fp8 v[124:127], a[94:95], a[6:7], v[124:127]// 0000000047D4: D3F3007C 1DF20D5E
	ds_read_b128 a[48:51], v2 offset:21248                     // 0000000047DC: DBFE5300 30000002
	ds_read_b128 a[52:55], v2 offset:21312                     // 0000000047E4: DBFE5340 34000002
	v_mfma_f32_16x16x32_fp8_fp8 v[108:111], a[80:81], a[8:9], v[108:111]// 0000000047EC: D3F3006C 1DB21150
	v_mfma_f32_16x16x32_fp8_fp8 v[108:111], a[82:83], a[10:11], v[108:111]// 0000000047F4: D3F3006C 1DB21552
	buffer_load_dwordx4 a[120:123], v61, s[84:87], 0 offen     // 0000000047FC: E05C1000 8095783D
	v_mfma_f32_16x16x32_fp8_fp8 v[108:111], a[84:85], a[12:13], v[108:111]// 000000004804: D3F3006C 1DB21954
	v_mfma_f32_16x16x32_fp8_fp8 v[108:111], a[86:87], a[14:15], v[108:111]// 00000000480C: D3F3006C 1DB21D56
	ds_read_b128 a[56:59], v2 offset:21760                     // 000000004814: DBFE5500 38000002
	ds_read_b128 a[60:63], v2 offset:21824                     // 00000000481C: DBFE5540 3C000002
	v_mfma_f32_16x16x32_fp8_fp8 v[128:131], a[88:89], a[8:9], v[128:131]// 000000004824: D3F30080 1E021158
	v_mfma_f32_16x16x32_fp8_fp8 v[128:131], a[90:91], a[10:11], v[128:131]// 00000000482C: D3F30080 1E02155A
	buffer_load_dwordx4 a[124:127], v61, s[84:87], 0 offen offset:1024// 000000004834: E05C1400 80957C3D
	v_mfma_f32_16x16x32_fp8_fp8 v[128:131], a[92:93], a[12:13], v[128:131]// 00000000483C: D3F30080 1E02195C
	v_mfma_f32_16x16x32_fp8_fp8 v[128:131], a[94:95], a[14:15], v[128:131]// 000000004844: D3F30080 1E021D5E
	ds_read_b128 a[64:67], v2 offset:22272                     // 00000000484C: DBFE5700 40000002
	ds_read_b128 a[68:71], v2 offset:22336                     // 000000004854: DBFE5740 44000002
	v_mfma_f32_16x16x32_fp8_fp8 v[112:115], a[80:81], a[16:17], v[112:115]// 00000000485C: D3F30070 1DC22150
	v_mfma_f32_16x16x32_fp8_fp8 v[112:115], a[82:83], a[18:19], v[112:115]// 000000004864: D3F30070 1DC22552
	v_mfma_f32_16x16x32_fp8_fp8 v[112:115], a[84:85], a[20:21], v[112:115]// 00000000486C: D3F30070 1DC22954
	v_mfma_f32_16x16x32_fp8_fp8 v[112:115], a[86:87], a[22:23], v[112:115]// 000000004874: D3F30070 1DC22D56
	ds_read_b128 a[72:75], v2 offset:22784                     // 00000000487C: DBFE5900 48000002
	ds_read_b128 a[76:79], v2 offset:22848                     // 000000004884: DBFE5940 4C000002
	v_mfma_f32_16x16x32_fp8_fp8 v[132:135], a[88:89], a[16:17], v[132:135]// 00000000488C: D3F30084 1E122158
	v_mfma_f32_16x16x32_fp8_fp8 v[132:135], a[90:91], a[18:19], v[132:135]// 000000004894: D3F30084 1E12255A
	v_mfma_f32_16x16x32_fp8_fp8 v[132:135], a[92:93], a[20:21], v[132:135]// 00000000489C: D3F30084 1E12295C
	v_mfma_f32_16x16x32_fp8_fp8 v[132:135], a[94:95], a[22:23], v[132:135]// 0000000048A4: D3F30084 1E122D5E
	v_mfma_f32_16x16x32_fp8_fp8 v[116:119], a[80:81], a[24:25], v[116:119]// 0000000048AC: D3F30074 1DD23150
	v_mfma_f32_16x16x32_fp8_fp8 v[116:119], a[82:83], a[26:27], v[116:119]// 0000000048B4: D3F30074 1DD23552
	v_mfma_f32_16x16x32_fp8_fp8 v[116:119], a[84:85], a[28:29], v[116:119]// 0000000048BC: D3F30074 1DD23954
	v_mfma_f32_16x16x32_fp8_fp8 v[116:119], a[86:87], a[30:31], v[116:119]// 0000000048C4: D3F30074 1DD23D56
	v_mfma_f32_16x16x32_fp8_fp8 v[136:139], a[88:89], a[24:25], v[136:139]// 0000000048CC: D3F30088 1E223158
	v_mfma_f32_16x16x32_fp8_fp8 v[136:139], a[90:91], a[26:27], v[136:139]// 0000000048D4: D3F30088 1E22355A
	v_mfma_f32_16x16x32_fp8_fp8 v[136:139], a[92:93], a[28:29], v[136:139]// 0000000048DC: D3F30088 1E22395C
	v_mfma_f32_16x16x32_fp8_fp8 v[136:139], a[94:95], a[30:31], v[136:139]// 0000000048E4: D3F30088 1E223D5E
	v_mfma_f32_16x16x32_fp8_fp8 v[120:123], a[80:81], a[32:33], v[120:123]// 0000000048EC: D3F30078 1DE24150
	s_add_u32 s60, 0x180, s80                                  // 0000000048F4: 803C50FF 00000180
	s_cmp_lt_u32 s60, s81                                      // 0000000048FC: BF0A513C
	s_cselect_b32 s57, s57, 0                                  // 000000004900: 85398039
	v_mfma_f32_16x16x32_fp8_fp8 v[120:123], a[82:83], a[34:35], v[120:123]// 000000004904: D3F30078 1DE24552
	s_add_u32 s60, 0x100, s80                                  // 00000000490C: 803C50FF 00000100
	s_cmp_lt_u32 s60, s81                                      // 000000004914: BF0A513C
	s_cselect_b32 s58, s58, 0                                  // 000000004918: 853A803A
	v_mfma_f32_16x16x32_fp8_fp8 v[120:123], a[84:85], a[36:37], v[120:123]// 00000000491C: D3F30078 1DE24954
	s_add_u32 s60, 0x100, s80                                  // 000000004924: 803C50FF 00000100
	s_cmp_lt_u32 s60, s81                                      // 00000000492C: BF0A513C
	s_cselect_b32 s83, s83, 0                                  // 000000004930: 85538053
	v_mfma_f32_16x16x32_fp8_fp8 v[120:123], a[86:87], a[38:39], v[120:123]// 000000004934: D3F30078 1DE24D56
	s_add_u32 s24, s58, s24                                    // 00000000493C: 8018183A
	s_addc_u32 s25, 0, s25                                     // 000000004940: 82191980
	v_mfma_f32_16x16x32_fp8_fp8 v[140:143], a[88:89], a[32:33], v[140:143]// 000000004944: D3F3008C 1E324158
	s_add_u32 s20, s57, s20                                    // 00000000494C: 80141439
	s_addc_u32 s21, 0, s21                                     // 000000004950: 82151580
	v_mfma_f32_16x16x32_fp8_fp8 v[140:143], a[90:91], a[34:35], v[140:143]// 000000004954: D3F3008C 1E32455A
	s_add_u32 s84, s83, s84                                    // 00000000495C: 80545453
	s_addc_u32 s85, 0, s85                                     // 000000004960: 82555580
	v_mfma_f32_16x16x32_fp8_fp8 v[140:143], a[92:93], a[36:37], v[140:143]// 000000004964: D3F3008C 1E32495C
	v_mfma_f32_16x16x32_fp8_fp8 v[140:143], a[94:95], a[38:39], v[140:143]// 00000000496C: D3F3008C 1E324D5E
	s_addk_i32 s80, 0x80                                       // 000000004974: B7500080
	s_cmp_lt_i32 s80, s81                                      // 000000004978: BF045150
	s_cbranch_scc0 label_08E4                                  // 00000000497C: BF840104
	s_waitcnt vmcnt(14) lgkmcnt(0)                             // 000000004980: BF8C007E
	v_mfma_f32_16x16x32_fp8_fp8 v[64:67], a[96:97], a[40:41], v[64:67]// 000000004984: D3F30040 1D025160
	v_mfma_f32_16x16x32_fp8_fp8 v[64:67], a[98:99], a[42:43], v[64:67]// 00000000498C: D3F30040 1D025562
	buffer_load_dwordx4 a[80:83], v60, s[24:27], 0 offen       // 000000004994: E05C1000 8086503C
	v_mfma_f32_16x16x32_fp8_fp8 v[64:67], a[100:101], a[44:45], v[64:67]// 00000000499C: D3F30040 1D025964
	v_mfma_f32_16x16x32_fp8_fp8 v[64:67], a[102:103], a[46:47], v[64:67]// 0000000049A4: D3F30040 1D025D66
	v_mfma_f32_16x16x32_fp8_fp8 v[84:87], a[104:105], a[40:41], v[84:87]// 0000000049AC: D3F30054 1D525168
	v_mfma_f32_16x16x32_fp8_fp8 v[84:87], a[106:107], a[42:43], v[84:87]// 0000000049B4: D3F30054 1D52556A
	buffer_load_dwordx4 a[84:87], v60, s[24:27], 0 offen offset:1024// 0000000049BC: E05C1400 8086543C
	v_mfma_f32_16x16x32_fp8_fp8 v[84:87], a[108:109], a[44:45], v[84:87]// 0000000049C4: D3F30054 1D52596C
	v_mfma_f32_16x16x32_fp8_fp8 v[84:87], a[110:111], a[46:47], v[84:87]// 0000000049CC: D3F30054 1D525D6E
	v_mfma_f32_16x16x32_fp8_fp8 v[68:71], a[96:97], a[48:49], v[68:71]// 0000000049D4: D3F30044 1D126160
	v_mfma_f32_16x16x32_fp8_fp8 v[68:71], a[98:99], a[50:51], v[68:71]// 0000000049DC: D3F30044 1D126562
	buffer_load_dwordx4 a[88:91], v61, s[24:27], 0 offen       // 0000000049E4: E05C1000 8086583D
	v_mfma_f32_16x16x32_fp8_fp8 v[68:71], a[100:101], a[52:53], v[68:71]// 0000000049EC: D3F30044 1D126964
	v_mfma_f32_16x16x32_fp8_fp8 v[68:71], a[102:103], a[54:55], v[68:71]// 0000000049F4: D3F30044 1D126D66
	v_mfma_f32_16x16x32_fp8_fp8 v[88:91], a[104:105], a[48:49], v[88:91]// 0000000049FC: D3F30058 1D626168
	v_mfma_f32_16x16x32_fp8_fp8 v[88:91], a[106:107], a[50:51], v[88:91]// 000000004A04: D3F30058 1D62656A
	buffer_load_dwordx4 a[92:95], v61, s[24:27], 0 offen offset:1024// 000000004A0C: E05C1400 80865C3D
	buffer_load_dword v50, s[20:23], 0 offen lds               // 000000004A14: E0511000 80050032
	s_add_u32 m0, 0x100, s49                                   // 000000004A1C: 807C31FF 00000100
	v_mfma_f32_16x16x32_fp8_fp8 v[88:91], a[108:109], a[52:53], v[88:91]// 000000004A24: D3F30058 1D62696C
	v_mfma_f32_16x16x32_fp8_fp8 v[88:91], a[110:111], a[54:55], v[88:91]// 000000004A2C: D3F30058 1D626D6E
	buffer_load_dword v51, s[20:23], 0 offen lds               // 000000004A34: E0511000 80050033
	s_add_u32 m0, 0x200, s49                                   // 000000004A3C: 807C31FF 00000200
	v_mfma_f32_16x16x32_fp8_fp8 v[72:75], a[96:97], a[56:57], v[72:75]// 000000004A44: D3F30048 1D227160
	v_mfma_f32_16x16x32_fp8_fp8 v[72:75], a[98:99], a[58:59], v[72:75]// 000000004A4C: D3F30048 1D227562
	buffer_load_dword v52, s[20:23], 0 offen lds               // 000000004A54: E0511000 80050034
	s_add_u32 m0, 0x300, s49                                   // 000000004A5C: 807C31FF 00000300
	v_mfma_f32_16x16x32_fp8_fp8 v[72:75], a[100:101], a[60:61], v[72:75]// 000000004A64: D3F30048 1D227964
	v_mfma_f32_16x16x32_fp8_fp8 v[72:75], a[102:103], a[62:63], v[72:75]// 000000004A6C: D3F30048 1D227D66
	buffer_load_dword v53, s[20:23], 0 offen lds               // 000000004A74: E0511000 80050035
	s_add_u32 m0, 0x400, s49                                   // 000000004A7C: 807C31FF 00000400
	v_mfma_f32_16x16x32_fp8_fp8 v[92:95], a[104:105], a[56:57], v[92:95]// 000000004A84: D3F3005C 1D727168
	v_mfma_f32_16x16x32_fp8_fp8 v[92:95], a[106:107], a[58:59], v[92:95]// 000000004A8C: D3F3005C 1D72756A
	buffer_load_dword v54, s[20:23], 0 offen lds               // 000000004A94: E0511000 80050036
	s_add_u32 m0, 0x500, s49                                   // 000000004A9C: 807C31FF 00000500
	v_mfma_f32_16x16x32_fp8_fp8 v[92:95], a[108:109], a[60:61], v[92:95]// 000000004AA4: D3F3005C 1D72796C
	v_mfma_f32_16x16x32_fp8_fp8 v[92:95], a[110:111], a[62:63], v[92:95]// 000000004AAC: D3F3005C 1D727D6E
	buffer_load_dword v55, s[20:23], 0 offen lds               // 000000004AB4: E0511000 80050037
	s_add_u32 m0, 0x600, s49                                   // 000000004ABC: 807C31FF 00000600
	v_mfma_f32_16x16x32_fp8_fp8 v[76:79], a[96:97], a[64:65], v[76:79]// 000000004AC4: D3F3004C 1D328160
	v_mfma_f32_16x16x32_fp8_fp8 v[76:79], a[98:99], a[66:67], v[76:79]// 000000004ACC: D3F3004C 1D328562
	buffer_load_dword v56, s[20:23], 0 offen lds               // 000000004AD4: E0511000 80050038
	s_add_u32 m0, 0x700, s49                                   // 000000004ADC: 807C31FF 00000700
	v_mfma_f32_16x16x32_fp8_fp8 v[76:79], a[100:101], a[68:69], v[76:79]// 000000004AE4: D3F3004C 1D328964
	v_mfma_f32_16x16x32_fp8_fp8 v[76:79], a[102:103], a[70:71], v[76:79]// 000000004AEC: D3F3004C 1D328D66
	buffer_load_dword v57, s[20:23], 0 offen lds               // 000000004AF4: E0511000 80050039
	s_add_u32 m0, 0x800, s49                                   // 000000004AFC: 807C31FF 00000800
	v_mfma_f32_16x16x32_fp8_fp8 v[96:99], a[104:105], a[64:65], v[96:99]// 000000004B04: D3F30060 1D828168
	v_mfma_f32_16x16x32_fp8_fp8 v[96:99], a[106:107], a[66:67], v[96:99]// 000000004B0C: D3F30060 1D82856A
	buffer_load_dword v58, s[20:23], 0 offen lds               // 000000004B14: E0511000 8005003A
	s_add_u32 m0, 0x900, s49                                   // 000000004B1C: 807C31FF 00000900
	v_mfma_f32_16x16x32_fp8_fp8 v[96:99], a[108:109], a[68:69], v[96:99]// 000000004B24: D3F30060 1D82896C
	v_mfma_f32_16x16x32_fp8_fp8 v[96:99], a[110:111], a[70:71], v[96:99]// 000000004B2C: D3F30060 1D828D6E
	buffer_load_dword v59, s[20:23], 0 offen lds               // 000000004B34: E0511000 8005003B
	s_add_u32 m0, 0, s50                                       // 000000004B3C: 807C3280
	v_mfma_f32_16x16x32_fp8_fp8 v[80:83], a[96:97], a[72:73], v[80:83]// 000000004B40: D3F30050 1D429160
	v_mfma_f32_16x16x32_fp8_fp8 v[80:83], a[98:99], a[74:75], v[80:83]// 000000004B48: D3F30050 1D429562
	v_mfma_f32_16x16x32_fp8_fp8 v[80:83], a[100:101], a[76:77], v[80:83]// 000000004B50: D3F30050 1D429964
	v_mfma_f32_16x16x32_fp8_fp8 v[80:83], a[102:103], a[78:79], v[80:83]// 000000004B58: D3F30050 1D429D66
	v_mfma_f32_16x16x32_fp8_fp8 v[100:103], a[104:105], a[72:73], v[100:103]// 000000004B60: D3F30064 1D929168
	v_mfma_f32_16x16x32_fp8_fp8 v[100:103], a[106:107], a[74:75], v[100:103]// 000000004B68: D3F30064 1D92956A
	v_mfma_f32_16x16x32_fp8_fp8 v[100:103], a[108:109], a[76:77], v[100:103]// 000000004B70: D3F30064 1D92996C
	v_mfma_f32_16x16x32_fp8_fp8 v[100:103], a[110:111], a[78:79], v[100:103]// 000000004B78: D3F30064 1D929D6E
	s_waitcnt vmcnt(14)                                        // 000000004B80: BF8C0F7E
	s_barrier                                                  // 000000004B84: BF8A0000
	v_mfma_f32_16x16x32_fp8_fp8 v[104:107], a[112:113], a[40:41], v[104:107]// 000000004B88: D3F30068 1DA25170
	v_mfma_f32_16x16x32_fp8_fp8 v[104:107], a[114:115], a[42:43], v[104:107]// 000000004B90: D3F30068 1DA25572
	buffer_load_dwordx4 a[96:99], v60, s[84:87], 0 offen       // 000000004B98: E05C1000 8095603C
	v_mfma_f32_16x16x32_fp8_fp8 v[104:107], a[116:117], a[44:45], v[104:107]// 000000004BA0: D3F30068 1DA25974
	v_mfma_f32_16x16x32_fp8_fp8 v[104:107], a[118:119], a[46:47], v[104:107]// 000000004BA8: D3F30068 1DA25D76
	ds_read_b128 a[0:3], v2                                    // 000000004BB0: DBFE0000 00000002
	ds_read_b128 a[4:7], v2 offset:64                          // 000000004BB8: DBFE0040 04000002
	v_mfma_f32_16x16x32_fp8_fp8 v[124:127], a[120:121], a[40:41], v[124:127]// 000000004BC0: D3F3007C 1DF25178
	v_mfma_f32_16x16x32_fp8_fp8 v[124:127], a[122:123], a[42:43], v[124:127]// 000000004BC8: D3F3007C 1DF2557A
	buffer_load_dwordx4 a[100:103], v60, s[84:87], 0 offen offset:1024// 000000004BD0: E05C1400 8095643C
	v_mfma_f32_16x16x32_fp8_fp8 v[124:127], a[124:125], a[44:45], v[124:127]// 000000004BD8: D3F3007C 1DF2597C
	v_mfma_f32_16x16x32_fp8_fp8 v[124:127], a[126:127], a[46:47], v[124:127]// 000000004BE0: D3F3007C 1DF25D7E
	ds_read_b128 a[8:11], v2 offset:512                        // 000000004BE8: DBFE0200 08000002
	ds_read_b128 a[12:15], v2 offset:576                       // 000000004BF0: DBFE0240 0C000002
	v_mfma_f32_16x16x32_fp8_fp8 v[108:111], a[112:113], a[48:49], v[108:111]// 000000004BF8: D3F3006C 1DB26170
	v_mfma_f32_16x16x32_fp8_fp8 v[108:111], a[114:115], a[50:51], v[108:111]// 000000004C00: D3F3006C 1DB26572
	buffer_load_dwordx4 a[104:107], v61, s[84:87], 0 offen     // 000000004C08: E05C1000 8095683D
	v_mfma_f32_16x16x32_fp8_fp8 v[108:111], a[116:117], a[52:53], v[108:111]// 000000004C10: D3F3006C 1DB26974
	v_mfma_f32_16x16x32_fp8_fp8 v[108:111], a[118:119], a[54:55], v[108:111]// 000000004C18: D3F3006C 1DB26D76
	ds_read_b128 a[16:19], v2 offset:1024                      // 000000004C20: DBFE0400 10000002
	ds_read_b128 a[20:23], v2 offset:1088                      // 000000004C28: DBFE0440 14000002
	v_mfma_f32_16x16x32_fp8_fp8 v[128:131], a[120:121], a[48:49], v[128:131]// 000000004C30: D3F30080 1E026178
	v_mfma_f32_16x16x32_fp8_fp8 v[128:131], a[122:123], a[50:51], v[128:131]// 000000004C38: D3F30080 1E02657A
	buffer_load_dwordx4 a[108:111], v61, s[84:87], 0 offen offset:1024// 000000004C40: E05C1400 80956C3D
	v_mfma_f32_16x16x32_fp8_fp8 v[128:131], a[124:125], a[52:53], v[128:131]// 000000004C48: D3F30080 1E02697C
	v_mfma_f32_16x16x32_fp8_fp8 v[128:131], a[126:127], a[54:55], v[128:131]// 000000004C50: D3F30080 1E026D7E
	ds_read_b128 a[24:27], v2 offset:1536                      // 000000004C58: DBFE0600 18000002
	ds_read_b128 a[28:31], v2 offset:1600                      // 000000004C60: DBFE0640 1C000002
	v_mfma_f32_16x16x32_fp8_fp8 v[112:115], a[112:113], a[56:57], v[112:115]// 000000004C68: D3F30070 1DC27170
	v_mfma_f32_16x16x32_fp8_fp8 v[112:115], a[114:115], a[58:59], v[112:115]// 000000004C70: D3F30070 1DC27572
	v_mfma_f32_16x16x32_fp8_fp8 v[112:115], a[116:117], a[60:61], v[112:115]// 000000004C78: D3F30070 1DC27974
	v_mfma_f32_16x16x32_fp8_fp8 v[112:115], a[118:119], a[62:63], v[112:115]// 000000004C80: D3F30070 1DC27D76
	ds_read_b128 a[32:35], v2 offset:2048                      // 000000004C88: DBFE0800 20000002
	ds_read_b128 a[36:39], v2 offset:2112                      // 000000004C90: DBFE0840 24000002
	v_mfma_f32_16x16x32_fp8_fp8 v[132:135], a[120:121], a[56:57], v[132:135]// 000000004C98: D3F30084 1E127178
	v_mfma_f32_16x16x32_fp8_fp8 v[132:135], a[122:123], a[58:59], v[132:135]// 000000004CA0: D3F30084 1E12757A
	v_mfma_f32_16x16x32_fp8_fp8 v[132:135], a[124:125], a[60:61], v[132:135]// 000000004CA8: D3F30084 1E12797C
	v_mfma_f32_16x16x32_fp8_fp8 v[132:135], a[126:127], a[62:63], v[132:135]// 000000004CB0: D3F30084 1E127D7E
	v_mfma_f32_16x16x32_fp8_fp8 v[116:119], a[112:113], a[64:65], v[116:119]// 000000004CB8: D3F30074 1DD28170
	v_mfma_f32_16x16x32_fp8_fp8 v[116:119], a[114:115], a[66:67], v[116:119]// 000000004CC0: D3F30074 1DD28572
	v_mfma_f32_16x16x32_fp8_fp8 v[116:119], a[116:117], a[68:69], v[116:119]// 000000004CC8: D3F30074 1DD28974
	v_mfma_f32_16x16x32_fp8_fp8 v[116:119], a[118:119], a[70:71], v[116:119]// 000000004CD0: D3F30074 1DD28D76
	v_mfma_f32_16x16x32_fp8_fp8 v[136:139], a[120:121], a[64:65], v[136:139]// 000000004CD8: D3F30088 1E228178
	v_mfma_f32_16x16x32_fp8_fp8 v[136:139], a[122:123], a[66:67], v[136:139]// 000000004CE0: D3F30088 1E22857A
	v_mfma_f32_16x16x32_fp8_fp8 v[136:139], a[124:125], a[68:69], v[136:139]// 000000004CE8: D3F30088 1E22897C
	v_mfma_f32_16x16x32_fp8_fp8 v[136:139], a[126:127], a[70:71], v[136:139]// 000000004CF0: D3F30088 1E228D7E
	v_mfma_f32_16x16x32_fp8_fp8 v[120:123], a[112:113], a[72:73], v[120:123]// 000000004CF8: D3F30078 1DE29170
	s_add_u32 s60, 0x180, s80                                  // 000000004D00: 803C50FF 00000180
	s_cmp_lt_u32 s60, s81                                      // 000000004D08: BF0A513C
	s_cselect_b32 s57, s57, 0                                  // 000000004D0C: 85398039
	v_mfma_f32_16x16x32_fp8_fp8 v[120:123], a[114:115], a[74:75], v[120:123]// 000000004D10: D3F30078 1DE29572
	s_add_u32 s60, 0x100, s80                                  // 000000004D18: 803C50FF 00000100
	s_cmp_lt_u32 s60, s81                                      // 000000004D20: BF0A513C
	s_cselect_b32 s58, s58, 0                                  // 000000004D24: 853A803A
	v_mfma_f32_16x16x32_fp8_fp8 v[120:123], a[116:117], a[76:77], v[120:123]// 000000004D28: D3F30078 1DE29974
	s_add_u32 s60, 0x100, s80                                  // 000000004D30: 803C50FF 00000100
	s_cmp_lt_u32 s60, s81                                      // 000000004D38: BF0A513C
	s_cselect_b32 s83, s83, 0                                  // 000000004D3C: 85538053
	v_mfma_f32_16x16x32_fp8_fp8 v[120:123], a[118:119], a[78:79], v[120:123]// 000000004D40: D3F30078 1DE29D76
	s_add_u32 s24, s58, s24                                    // 000000004D48: 8018183A
	s_addc_u32 s25, 0, s25                                     // 000000004D4C: 82191980
	v_mfma_f32_16x16x32_fp8_fp8 v[140:143], a[120:121], a[72:73], v[140:143]// 000000004D50: D3F3008C 1E329178
	s_add_u32 s20, s57, s20                                    // 000000004D58: 80141439
	s_addc_u32 s21, 0, s21                                     // 000000004D5C: 82151580
	v_mfma_f32_16x16x32_fp8_fp8 v[140:143], a[122:123], a[74:75], v[140:143]// 000000004D60: D3F3008C 1E32957A
	s_add_u32 s84, s83, s84                                    // 000000004D68: 80545453
	s_addc_u32 s85, 0, s85                                     // 000000004D6C: 82555580
	v_mfma_f32_16x16x32_fp8_fp8 v[140:143], a[124:125], a[76:77], v[140:143]// 000000004D70: D3F3008C 1E32997C
	v_mfma_f32_16x16x32_fp8_fp8 v[140:143], a[126:127], a[78:79], v[140:143]// 000000004D78: D3F3008C 1E329D7E
	s_addk_i32 s80, 0x80                                       // 000000004D80: B7500080
	s_cmp_lt_i32 s80, s81                                      // 000000004D84: BF045150
	s_cbranch_scc0 label_08E4                                  // 000000004D88: BF840001
	s_branch label_02D1                                        // 000000004D8C: BF82F9ED

0000000000004d90 <label_08E4>:
	v_mul_f32_dpp v64, v24, v64 row_newbcast:0 row_mask:0xf bank_mask:0xf// 000000004D90: 0A8080FA FF015018
	v_mul_f32_dpp v65, v24, v65 row_newbcast:1 row_mask:0xf bank_mask:0xf// 000000004D98: 0A8282FA FF015118
	v_mul_f32_dpp v66, v24, v66 row_newbcast:2 row_mask:0xf bank_mask:0xf// 000000004DA0: 0A8484FA FF015218
	v_mul_f32_dpp v67, v24, v67 row_newbcast:3 row_mask:0xf bank_mask:0xf// 000000004DA8: 0A8686FA FF015318
	v_mul_f32_dpp v68, v24, v68 row_newbcast:0 row_mask:0xf bank_mask:0xf// 000000004DB0: 0A8888FA FF015018
	v_mul_f32_dpp v69, v24, v69 row_newbcast:1 row_mask:0xf bank_mask:0xf// 000000004DB8: 0A8A8AFA FF015118
	v_mul_f32_dpp v70, v24, v70 row_newbcast:2 row_mask:0xf bank_mask:0xf// 000000004DC0: 0A8C8CFA FF015218
	v_mul_f32_dpp v71, v24, v71 row_newbcast:3 row_mask:0xf bank_mask:0xf// 000000004DC8: 0A8E8EFA FF015318
	v_mul_f32_dpp v72, v24, v72 row_newbcast:0 row_mask:0xf bank_mask:0xf// 000000004DD0: 0A9090FA FF015018
	v_mul_f32_dpp v73, v24, v73 row_newbcast:1 row_mask:0xf bank_mask:0xf// 000000004DD8: 0A9292FA FF015118
	v_mul_f32_dpp v74, v24, v74 row_newbcast:2 row_mask:0xf bank_mask:0xf// 000000004DE0: 0A9494FA FF015218
	v_mul_f32_dpp v75, v24, v75 row_newbcast:3 row_mask:0xf bank_mask:0xf// 000000004DE8: 0A9696FA FF015318
	v_mul_f32_dpp v76, v24, v76 row_newbcast:0 row_mask:0xf bank_mask:0xf// 000000004DF0: 0A9898FA FF015018
	v_mul_f32_dpp v77, v24, v77 row_newbcast:1 row_mask:0xf bank_mask:0xf// 000000004DF8: 0A9A9AFA FF015118
	v_mul_f32_dpp v78, v24, v78 row_newbcast:2 row_mask:0xf bank_mask:0xf// 000000004E00: 0A9C9CFA FF015218
	v_mul_f32_dpp v79, v24, v79 row_newbcast:3 row_mask:0xf bank_mask:0xf// 000000004E08: 0A9E9EFA FF015318
	v_mul_f32_dpp v80, v24, v80 row_newbcast:0 row_mask:0xf bank_mask:0xf// 000000004E10: 0AA0A0FA FF015018
	v_mul_f32_dpp v81, v24, v81 row_newbcast:1 row_mask:0xf bank_mask:0xf// 000000004E18: 0AA2A2FA FF015118
	v_mul_f32_dpp v82, v24, v82 row_newbcast:2 row_mask:0xf bank_mask:0xf// 000000004E20: 0AA4A4FA FF015218
	v_mul_f32_dpp v83, v24, v83 row_newbcast:3 row_mask:0xf bank_mask:0xf// 000000004E28: 0AA6A6FA FF015318
	v_mul_f32_dpp v84, v24, v84 row_newbcast:4 row_mask:0xf bank_mask:0xf// 000000004E30: 0AA8A8FA FF015418
	v_mul_f32_dpp v85, v24, v85 row_newbcast:5 row_mask:0xf bank_mask:0xf// 000000004E38: 0AAAAAFA FF015518
	v_mul_f32_dpp v86, v24, v86 row_newbcast:6 row_mask:0xf bank_mask:0xf// 000000004E40: 0AACACFA FF015618
	v_mul_f32_dpp v87, v24, v87 row_newbcast:7 row_mask:0xf bank_mask:0xf// 000000004E48: 0AAEAEFA FF015718
	v_mul_f32_dpp v88, v24, v88 row_newbcast:4 row_mask:0xf bank_mask:0xf// 000000004E50: 0AB0B0FA FF015418
	v_mul_f32_dpp v89, v24, v89 row_newbcast:5 row_mask:0xf bank_mask:0xf// 000000004E58: 0AB2B2FA FF015518
	v_mul_f32_dpp v90, v24, v90 row_newbcast:6 row_mask:0xf bank_mask:0xf// 000000004E60: 0AB4B4FA FF015618
	v_mul_f32_dpp v91, v24, v91 row_newbcast:7 row_mask:0xf bank_mask:0xf// 000000004E68: 0AB6B6FA FF015718
	v_mul_f32_dpp v92, v24, v92 row_newbcast:4 row_mask:0xf bank_mask:0xf// 000000004E70: 0AB8B8FA FF015418
	v_mul_f32_dpp v93, v24, v93 row_newbcast:5 row_mask:0xf bank_mask:0xf// 000000004E78: 0ABABAFA FF015518
	v_mul_f32_dpp v94, v24, v94 row_newbcast:6 row_mask:0xf bank_mask:0xf// 000000004E80: 0ABCBCFA FF015618
	v_mul_f32_dpp v95, v24, v95 row_newbcast:7 row_mask:0xf bank_mask:0xf// 000000004E88: 0ABEBEFA FF015718
	v_mul_f32_dpp v96, v24, v96 row_newbcast:4 row_mask:0xf bank_mask:0xf// 000000004E90: 0AC0C0FA FF015418
	v_mul_f32_dpp v97, v24, v97 row_newbcast:5 row_mask:0xf bank_mask:0xf// 000000004E98: 0AC2C2FA FF015518
	v_mul_f32_dpp v98, v24, v98 row_newbcast:6 row_mask:0xf bank_mask:0xf// 000000004EA0: 0AC4C4FA FF015618
	v_mul_f32_dpp v99, v24, v99 row_newbcast:7 row_mask:0xf bank_mask:0xf// 000000004EA8: 0AC6C6FA FF015718
	v_mul_f32_dpp v100, v24, v100 row_newbcast:4 row_mask:0xf bank_mask:0xf// 000000004EB0: 0AC8C8FA FF015418
	v_mul_f32_dpp v101, v24, v101 row_newbcast:5 row_mask:0xf bank_mask:0xf// 000000004EB8: 0ACACAFA FF015518
	v_mul_f32_dpp v102, v24, v102 row_newbcast:6 row_mask:0xf bank_mask:0xf// 000000004EC0: 0ACCCCFA FF015618
	v_mul_f32_dpp v103, v24, v103 row_newbcast:7 row_mask:0xf bank_mask:0xf// 000000004EC8: 0ACECEFA FF015718
	v_mul_f32_dpp v104, v27, v104 row_newbcast:0 row_mask:0xf bank_mask:0xf// 000000004ED0: 0AD0D0FA FF01501B
	v_mul_f32_dpp v105, v27, v105 row_newbcast:1 row_mask:0xf bank_mask:0xf// 000000004ED8: 0AD2D2FA FF01511B
	v_mul_f32_dpp v106, v27, v106 row_newbcast:2 row_mask:0xf bank_mask:0xf// 000000004EE0: 0AD4D4FA FF01521B
	v_mul_f32_dpp v107, v27, v107 row_newbcast:3 row_mask:0xf bank_mask:0xf// 000000004EE8: 0AD6D6FA FF01531B
	v_mul_f32_dpp v108, v27, v108 row_newbcast:0 row_mask:0xf bank_mask:0xf// 000000004EF0: 0AD8D8FA FF01501B
	v_mul_f32_dpp v109, v27, v109 row_newbcast:1 row_mask:0xf bank_mask:0xf// 000000004EF8: 0ADADAFA FF01511B
	v_mul_f32_dpp v110, v27, v110 row_newbcast:2 row_mask:0xf bank_mask:0xf// 000000004F00: 0ADCDCFA FF01521B
	v_mul_f32_dpp v111, v27, v111 row_newbcast:3 row_mask:0xf bank_mask:0xf// 000000004F08: 0ADEDEFA FF01531B
	v_mul_f32_dpp v112, v27, v112 row_newbcast:0 row_mask:0xf bank_mask:0xf// 000000004F10: 0AE0E0FA FF01501B
	v_mul_f32_dpp v113, v27, v113 row_newbcast:1 row_mask:0xf bank_mask:0xf// 000000004F18: 0AE2E2FA FF01511B
	v_mul_f32_dpp v114, v27, v114 row_newbcast:2 row_mask:0xf bank_mask:0xf// 000000004F20: 0AE4E4FA FF01521B
	v_mul_f32_dpp v115, v27, v115 row_newbcast:3 row_mask:0xf bank_mask:0xf// 000000004F28: 0AE6E6FA FF01531B
	v_mul_f32_dpp v116, v27, v116 row_newbcast:0 row_mask:0xf bank_mask:0xf// 000000004F30: 0AE8E8FA FF01501B
	v_mul_f32_dpp v117, v27, v117 row_newbcast:1 row_mask:0xf bank_mask:0xf// 000000004F38: 0AEAEAFA FF01511B
	v_mul_f32_dpp v118, v27, v118 row_newbcast:2 row_mask:0xf bank_mask:0xf// 000000004F40: 0AECECFA FF01521B
	v_mul_f32_dpp v119, v27, v119 row_newbcast:3 row_mask:0xf bank_mask:0xf// 000000004F48: 0AEEEEFA FF01531B
	v_mul_f32_dpp v120, v27, v120 row_newbcast:0 row_mask:0xf bank_mask:0xf// 000000004F50: 0AF0F0FA FF01501B
	v_mul_f32_dpp v121, v27, v121 row_newbcast:1 row_mask:0xf bank_mask:0xf// 000000004F58: 0AF2F2FA FF01511B
	v_mul_f32_dpp v122, v27, v122 row_newbcast:2 row_mask:0xf bank_mask:0xf// 000000004F60: 0AF4F4FA FF01521B
	v_mul_f32_dpp v123, v27, v123 row_newbcast:3 row_mask:0xf bank_mask:0xf// 000000004F68: 0AF6F6FA FF01531B
	v_mul_f32_dpp v124, v27, v124 row_newbcast:4 row_mask:0xf bank_mask:0xf// 000000004F70: 0AF8F8FA FF01541B
	v_mul_f32_dpp v125, v27, v125 row_newbcast:5 row_mask:0xf bank_mask:0xf// 000000004F78: 0AFAFAFA FF01551B
	v_mul_f32_dpp v126, v27, v126 row_newbcast:6 row_mask:0xf bank_mask:0xf// 000000004F80: 0AFCFCFA FF01561B
	v_mul_f32_dpp v127, v27, v127 row_newbcast:7 row_mask:0xf bank_mask:0xf// 000000004F88: 0AFEFEFA FF01571B
	v_mul_f32_dpp v128, v27, v128 row_newbcast:4 row_mask:0xf bank_mask:0xf// 000000004F90: 0B0100FA FF01541B
	v_mul_f32_dpp v129, v27, v129 row_newbcast:5 row_mask:0xf bank_mask:0xf// 000000004F98: 0B0302FA FF01551B
	v_mul_f32_dpp v130, v27, v130 row_newbcast:6 row_mask:0xf bank_mask:0xf// 000000004FA0: 0B0504FA FF01561B
	v_mul_f32_dpp v131, v27, v131 row_newbcast:7 row_mask:0xf bank_mask:0xf// 000000004FA8: 0B0706FA FF01571B
	v_mul_f32_dpp v132, v27, v132 row_newbcast:4 row_mask:0xf bank_mask:0xf// 000000004FB0: 0B0908FA FF01541B
	v_mul_f32_dpp v133, v27, v133 row_newbcast:5 row_mask:0xf bank_mask:0xf// 000000004FB8: 0B0B0AFA FF01551B
	v_mul_f32_dpp v134, v27, v134 row_newbcast:6 row_mask:0xf bank_mask:0xf// 000000004FC0: 0B0D0CFA FF01561B
	v_mul_f32_dpp v135, v27, v135 row_newbcast:7 row_mask:0xf bank_mask:0xf// 000000004FC8: 0B0F0EFA FF01571B
	v_mul_f32_dpp v136, v27, v136 row_newbcast:4 row_mask:0xf bank_mask:0xf// 000000004FD0: 0B1110FA FF01541B
	v_mul_f32_dpp v137, v27, v137 row_newbcast:5 row_mask:0xf bank_mask:0xf// 000000004FD8: 0B1312FA FF01551B
	v_mul_f32_dpp v138, v27, v138 row_newbcast:6 row_mask:0xf bank_mask:0xf// 000000004FE0: 0B1514FA FF01561B
	v_mul_f32_dpp v139, v27, v139 row_newbcast:7 row_mask:0xf bank_mask:0xf// 000000004FE8: 0B1716FA FF01571B
	v_mul_f32_dpp v140, v27, v140 row_newbcast:4 row_mask:0xf bank_mask:0xf// 000000004FF0: 0B1918FA FF01541B
	v_mul_f32_dpp v141, v27, v141 row_newbcast:5 row_mask:0xf bank_mask:0xf// 000000004FF8: 0B1B1AFA FF01551B
	v_mul_f32_dpp v142, v27, v142 row_newbcast:6 row_mask:0xf bank_mask:0xf// 000000005000: 0B1D1CFA FF01561B
	v_mul_f32_dpp v143, v27, v143 row_newbcast:7 row_mask:0xf bank_mask:0xf// 000000005008: 0B1F1EFA FF01571B
	v_mul_f32_e32 v35, v35, v144                               // 000000005010: 0A472123
	v_mov_b32_e32 v4, v35                                      // 000000005014: 7E080323
	v_mov_b32_e32 v5, v4                                       // 000000005018: 7E0A0304
	v_pk_mul_f32 v[64:65], v[4:5], v[64:65]                    // 00000000501C: D3B14040 18028104
	v_pk_mul_f32 v[104:105], v[4:5], v[104:105]                // 000000005024: D3B14068 1802D104
	v_pk_mul_f32 v[66:67], v[4:5], v[66:67]                    // 00000000502C: D3B14042 18028504
	v_pk_mul_f32 v[106:107], v[4:5], v[106:107]                // 000000005034: D3B1406A 1802D504
	v_pk_mul_f32 v[84:85], v[4:5], v[84:85]                    // 00000000503C: D3B14054 1802A904
	v_pk_mul_f32 v[124:125], v[4:5], v[124:125]                // 000000005044: D3B1407C 1802F904
	v_pk_mul_f32 v[86:87], v[4:5], v[86:87]                    // 00000000504C: D3B14056 1802AD04
	v_pk_mul_f32 v[126:127], v[4:5], v[126:127]                // 000000005054: D3B1407E 1802FD04
	v_mul_f32_e32 v36, v36, v145                               // 00000000505C: 0A492324
	v_mov_b32_e32 v4, v36                                      // 000000005060: 7E080324
	v_mov_b32_e32 v5, v4                                       // 000000005064: 7E0A0304
	v_pk_mul_f32 v[68:69], v[4:5], v[68:69]                    // 000000005068: D3B14044 18028904
	v_pk_mul_f32 v[108:109], v[4:5], v[108:109]                // 000000005070: D3B1406C 1802D904
	v_pk_mul_f32 v[70:71], v[4:5], v[70:71]                    // 000000005078: D3B14046 18028D04
	v_pk_mul_f32 v[110:111], v[4:5], v[110:111]                // 000000005080: D3B1406E 1802DD04
	v_pk_mul_f32 v[88:89], v[4:5], v[88:89]                    // 000000005088: D3B14058 1802B104
	v_pk_mul_f32 v[128:129], v[4:5], v[128:129]                // 000000005090: D3B14080 18030104
	v_pk_mul_f32 v[90:91], v[4:5], v[90:91]                    // 000000005098: D3B1405A 1802B504
	v_pk_mul_f32 v[130:131], v[4:5], v[130:131]                // 0000000050A0: D3B14082 18030504
	v_mul_f32_e32 v37, v37, v146                               // 0000000050A8: 0A4B2525
	v_mov_b32_e32 v4, v37                                      // 0000000050AC: 7E080325
	v_mov_b32_e32 v5, v4                                       // 0000000050B0: 7E0A0304
	v_pk_mul_f32 v[72:73], v[4:5], v[72:73]                    // 0000000050B4: D3B14048 18029104
	v_pk_mul_f32 v[112:113], v[4:5], v[112:113]                // 0000000050BC: D3B14070 1802E104
	v_pk_mul_f32 v[74:75], v[4:5], v[74:75]                    // 0000000050C4: D3B1404A 18029504
	v_pk_mul_f32 v[114:115], v[4:5], v[114:115]                // 0000000050CC: D3B14072 1802E504
	v_pk_mul_f32 v[92:93], v[4:5], v[92:93]                    // 0000000050D4: D3B1405C 1802B904
	v_pk_mul_f32 v[132:133], v[4:5], v[132:133]                // 0000000050DC: D3B14084 18030904
	v_pk_mul_f32 v[94:95], v[4:5], v[94:95]                    // 0000000050E4: D3B1405E 1802BD04
	v_pk_mul_f32 v[134:135], v[4:5], v[134:135]                // 0000000050EC: D3B14086 18030D04
	v_mul_f32_e32 v38, v38, v147                               // 0000000050F4: 0A4D2726
	v_mov_b32_e32 v4, v38                                      // 0000000050F8: 7E080326
	v_mov_b32_e32 v5, v4                                       // 0000000050FC: 7E0A0304
	v_pk_mul_f32 v[76:77], v[4:5], v[76:77]                    // 000000005100: D3B1404C 18029904
	v_pk_mul_f32 v[116:117], v[4:5], v[116:117]                // 000000005108: D3B14074 1802E904
	v_pk_mul_f32 v[78:79], v[4:5], v[78:79]                    // 000000005110: D3B1404E 18029D04
	v_pk_mul_f32 v[118:119], v[4:5], v[118:119]                // 000000005118: D3B14076 1802ED04
	v_pk_mul_f32 v[96:97], v[4:5], v[96:97]                    // 000000005120: D3B14060 1802C104
	v_pk_mul_f32 v[136:137], v[4:5], v[136:137]                // 000000005128: D3B14088 18031104
	v_pk_mul_f32 v[98:99], v[4:5], v[98:99]                    // 000000005130: D3B14062 1802C504
	v_pk_mul_f32 v[138:139], v[4:5], v[138:139]                // 000000005138: D3B1408A 18031504
	v_mul_f32_e32 v39, v39, v148                               // 000000005140: 0A4F2927
	v_mov_b32_e32 v4, v39                                      // 000000005144: 7E080327
	v_mov_b32_e32 v5, v4                                       // 000000005148: 7E0A0304
	v_pk_mul_f32 v[80:81], v[4:5], v[80:81]                    // 00000000514C: D3B14050 1802A104
	v_pk_mul_f32 v[120:121], v[4:5], v[120:121]                // 000000005154: D3B14078 1802F104
	v_pk_mul_f32 v[82:83], v[4:5], v[82:83]                    // 00000000515C: D3B14052 1802A504
	v_pk_mul_f32 v[122:123], v[4:5], v[122:123]                // 000000005164: D3B1407A 1802F504
	v_pk_mul_f32 v[100:101], v[4:5], v[100:101]                // 00000000516C: D3B14064 1802C904
	v_pk_mul_f32 v[140:141], v[4:5], v[140:141]                // 000000005174: D3B1408C 18031904
	v_pk_mul_f32 v[102:103], v[4:5], v[102:103]                // 00000000517C: D3B14066 1802CD04
	v_pk_mul_f32 v[142:143], v[4:5], v[142:143]                // 000000005184: D3B1408E 18031D04
	s_cmp_eq_u32 s88, 0                                        // 00000000518C: BF068058
	s_cbranch_scc0 label_0FCE                                  // 000000005190: BF8405E9
	s_cmp_eq_u32 s89, 0                                        // 000000005194: BF068059
	s_cbranch_scc1 label_0B7C                                  // 000000005198: BF850195
	v_mov_b32_e32 v8, v1                                       // 00000000519C: 7E100301
	v_mov_b32_e32 v9, v1                                       // 0000000051A0: 7E120301
	s_mov_b32 s60, s6                                          // 0000000051A4: BEBC0006
	s_mov_b32 s61, s6                                          // 0000000051A8: BEBD0006
	v_pk_mul_f32 v[4:5], v[64:65], v[64:65]                    // 0000000051AC: D3B14004 18028140
	v_pk_mul_f32 v[6:7], v[66:67], v[66:67]                    // 0000000051B4: D3B14006 18028542
	v_pk_fma_f32 v[4:5], v[4:5], s[78:79], v[8:9]              // 0000000051BC: D3B04004 1C209D04
	v_pk_fma_f32 v[6:7], v[6:7], s[78:79], v[8:9]              // 0000000051C4: D3B04006 1C209D06
	v_pk_mul_f32 v[4:5], v[4:5], v[64:65]                      // 0000000051CC: D3B14004 18028104
	v_pk_mul_f32 v[6:7], v[6:7], v[66:67]                      // 0000000051D4: D3B14006 18028506
	v_pk_mul_f32 v[4:5], v[4:5], s[60:61]                      // 0000000051DC: D3B14004 18007904
	v_pk_mul_f32 v[6:7], v[6:7], s[60:61]                      // 0000000051E4: D3B14006 18007906
	v_exp_f32_e32 v4, v4                                       // 0000000051EC: 7E084104
	v_exp_f32_e32 v5, v5                                       // 0000000051F0: 7E0A4105
	v_exp_f32_e32 v6, v6                                       // 0000000051F4: 7E0C4106
	v_exp_f32_e32 v7, v7                                       // 0000000051F8: 7E0E4107
	v_add_f32_e64 v4, v4, 1.0                                  // 0000000051FC: D1010004 0001E504
	v_add_f32_e64 v5, v5, 1.0                                  // 000000005204: D1010005 0001E505
	v_add_f32_e64 v6, v6, 1.0                                  // 00000000520C: D1010006 0001E506
	v_add_f32_e64 v7, v7, 1.0                                  // 000000005214: D1010007 0001E507
	v_rcp_f32_e32 v4, v4                                       // 00000000521C: 7E084504
	v_rcp_f32_e32 v5, v5                                       // 000000005220: 7E0A4505
	v_rcp_f32_e32 v6, v6                                       // 000000005224: 7E0C4506
	v_rcp_f32_e32 v7, v7                                       // 000000005228: 7E0E4507
	v_mul_f32_e32 v64, v64, v4                                 // 00000000522C: 0A800940
	v_mul_f32_e32 v65, v65, v5                                 // 000000005230: 0A820B41
	v_mul_f32_e32 v66, v66, v6                                 // 000000005234: 0A840D42
	v_mul_f32_e32 v67, v67, v7                                 // 000000005238: 0A860F43
	v_mul_f32_e32 v64, v64, v104                               // 00000000523C: 0A80D140
	v_mul_f32_e32 v65, v65, v105                               // 000000005240: 0A82D341
	v_mul_f32_e32 v66, v66, v106                               // 000000005244: 0A84D542
	v_mul_f32_e32 v67, v67, v107                               // 000000005248: 0A86D743
	v_pk_mul_f32 v[4:5], v[68:69], v[68:69]                    // 00000000524C: D3B14004 18028944
	v_pk_mul_f32 v[6:7], v[70:71], v[70:71]                    // 000000005254: D3B14006 18028D46
	v_pk_fma_f32 v[4:5], v[4:5], s[78:79], v[8:9]              // 00000000525C: D3B04004 1C209D04
	v_pk_fma_f32 v[6:7], v[6:7], s[78:79], v[8:9]              // 000000005264: D3B04006 1C209D06
	v_pk_mul_f32 v[4:5], v[4:5], v[68:69]                      // 00000000526C: D3B14004 18028904
	v_pk_mul_f32 v[6:7], v[6:7], v[70:71]                      // 000000005274: D3B14006 18028D06
	v_pk_mul_f32 v[4:5], v[4:5], s[60:61]                      // 00000000527C: D3B14004 18007904
	v_pk_mul_f32 v[6:7], v[6:7], s[60:61]                      // 000000005284: D3B14006 18007906
	v_exp_f32_e32 v4, v4                                       // 00000000528C: 7E084104
	v_exp_f32_e32 v5, v5                                       // 000000005290: 7E0A4105
	v_exp_f32_e32 v6, v6                                       // 000000005294: 7E0C4106
	v_exp_f32_e32 v7, v7                                       // 000000005298: 7E0E4107
	v_add_f32_e64 v4, v4, 1.0                                  // 00000000529C: D1010004 0001E504
	v_add_f32_e64 v5, v5, 1.0                                  // 0000000052A4: D1010005 0001E505
	v_add_f32_e64 v6, v6, 1.0                                  // 0000000052AC: D1010006 0001E506
	v_add_f32_e64 v7, v7, 1.0                                  // 0000000052B4: D1010007 0001E507
	v_rcp_f32_e32 v4, v4                                       // 0000000052BC: 7E084504
	v_rcp_f32_e32 v5, v5                                       // 0000000052C0: 7E0A4505
	v_rcp_f32_e32 v6, v6                                       // 0000000052C4: 7E0C4506
	v_rcp_f32_e32 v7, v7                                       // 0000000052C8: 7E0E4507
	v_mul_f32_e32 v68, v68, v4                                 // 0000000052CC: 0A880944
	v_mul_f32_e32 v69, v69, v5                                 // 0000000052D0: 0A8A0B45
	v_mul_f32_e32 v70, v70, v6                                 // 0000000052D4: 0A8C0D46
	v_mul_f32_e32 v71, v71, v7                                 // 0000000052D8: 0A8E0F47
	v_mul_f32_e32 v68, v68, v108                               // 0000000052DC: 0A88D944
	v_mul_f32_e32 v69, v69, v109                               // 0000000052E0: 0A8ADB45
	v_mul_f32_e32 v70, v70, v110                               // 0000000052E4: 0A8CDD46
	v_mul_f32_e32 v71, v71, v111                               // 0000000052E8: 0A8EDF47
	v_pk_mul_f32 v[4:5], v[72:73], v[72:73]                    // 0000000052EC: D3B14004 18029148
	v_pk_mul_f32 v[6:7], v[74:75], v[74:75]                    // 0000000052F4: D3B14006 1802954A
	v_pk_fma_f32 v[4:5], v[4:5], s[78:79], v[8:9]              // 0000000052FC: D3B04004 1C209D04
	v_pk_fma_f32 v[6:7], v[6:7], s[78:79], v[8:9]              // 000000005304: D3B04006 1C209D06
	v_pk_mul_f32 v[4:5], v[4:5], v[72:73]                      // 00000000530C: D3B14004 18029104
	v_pk_mul_f32 v[6:7], v[6:7], v[74:75]                      // 000000005314: D3B14006 18029506
	v_pk_mul_f32 v[4:5], v[4:5], s[60:61]                      // 00000000531C: D3B14004 18007904
	v_pk_mul_f32 v[6:7], v[6:7], s[60:61]                      // 000000005324: D3B14006 18007906
	v_exp_f32_e32 v4, v4                                       // 00000000532C: 7E084104
	v_exp_f32_e32 v5, v5                                       // 000000005330: 7E0A4105
	v_exp_f32_e32 v6, v6                                       // 000000005334: 7E0C4106
	v_exp_f32_e32 v7, v7                                       // 000000005338: 7E0E4107
	v_add_f32_e64 v4, v4, 1.0                                  // 00000000533C: D1010004 0001E504
	v_add_f32_e64 v5, v5, 1.0                                  // 000000005344: D1010005 0001E505
	v_add_f32_e64 v6, v6, 1.0                                  // 00000000534C: D1010006 0001E506
	v_add_f32_e64 v7, v7, 1.0                                  // 000000005354: D1010007 0001E507
	v_rcp_f32_e32 v4, v4                                       // 00000000535C: 7E084504
	v_rcp_f32_e32 v5, v5                                       // 000000005360: 7E0A4505
	v_rcp_f32_e32 v6, v6                                       // 000000005364: 7E0C4506
	v_rcp_f32_e32 v7, v7                                       // 000000005368: 7E0E4507
	v_mul_f32_e32 v72, v72, v4                                 // 00000000536C: 0A900948
	v_mul_f32_e32 v73, v73, v5                                 // 000000005370: 0A920B49
	v_mul_f32_e32 v74, v74, v6                                 // 000000005374: 0A940D4A
	v_mul_f32_e32 v75, v75, v7                                 // 000000005378: 0A960F4B
	v_mul_f32_e32 v72, v72, v112                               // 00000000537C: 0A90E148
	v_mul_f32_e32 v73, v73, v113                               // 000000005380: 0A92E349
	v_mul_f32_e32 v74, v74, v114                               // 000000005384: 0A94E54A
	v_mul_f32_e32 v75, v75, v115                               // 000000005388: 0A96E74B
	v_pk_mul_f32 v[4:5], v[76:77], v[76:77]                    // 00000000538C: D3B14004 1802994C
	v_pk_mul_f32 v[6:7], v[78:79], v[78:79]                    // 000000005394: D3B14006 18029D4E
	v_pk_fma_f32 v[4:5], v[4:5], s[78:79], v[8:9]              // 00000000539C: D3B04004 1C209D04
	v_pk_fma_f32 v[6:7], v[6:7], s[78:79], v[8:9]              // 0000000053A4: D3B04006 1C209D06
	v_pk_mul_f32 v[4:5], v[4:5], v[76:77]                      // 0000000053AC: D3B14004 18029904
	v_pk_mul_f32 v[6:7], v[6:7], v[78:79]                      // 0000000053B4: D3B14006 18029D06
	v_pk_mul_f32 v[4:5], v[4:5], s[60:61]                      // 0000000053BC: D3B14004 18007904
	v_pk_mul_f32 v[6:7], v[6:7], s[60:61]                      // 0000000053C4: D3B14006 18007906
	v_exp_f32_e32 v4, v4                                       // 0000000053CC: 7E084104
	v_exp_f32_e32 v5, v5                                       // 0000000053D0: 7E0A4105
	v_exp_f32_e32 v6, v6                                       // 0000000053D4: 7E0C4106
	v_exp_f32_e32 v7, v7                                       // 0000000053D8: 7E0E4107
	v_add_f32_e64 v4, v4, 1.0                                  // 0000000053DC: D1010004 0001E504
	v_add_f32_e64 v5, v5, 1.0                                  // 0000000053E4: D1010005 0001E505
	v_add_f32_e64 v6, v6, 1.0                                  // 0000000053EC: D1010006 0001E506
	v_add_f32_e64 v7, v7, 1.0                                  // 0000000053F4: D1010007 0001E507
	v_rcp_f32_e32 v4, v4                                       // 0000000053FC: 7E084504
	v_rcp_f32_e32 v5, v5                                       // 000000005400: 7E0A4505
	v_rcp_f32_e32 v6, v6                                       // 000000005404: 7E0C4506
	v_rcp_f32_e32 v7, v7                                       // 000000005408: 7E0E4507
	v_mul_f32_e32 v76, v76, v4                                 // 00000000540C: 0A98094C
	v_mul_f32_e32 v77, v77, v5                                 // 000000005410: 0A9A0B4D
	v_mul_f32_e32 v78, v78, v6                                 // 000000005414: 0A9C0D4E
	v_mul_f32_e32 v79, v79, v7                                 // 000000005418: 0A9E0F4F
	v_mul_f32_e32 v76, v76, v116                               // 00000000541C: 0A98E94C
	v_mul_f32_e32 v77, v77, v117                               // 000000005420: 0A9AEB4D
	v_mul_f32_e32 v78, v78, v118                               // 000000005424: 0A9CED4E
	v_mul_f32_e32 v79, v79, v119                               // 000000005428: 0A9EEF4F
	v_pk_mul_f32 v[4:5], v[80:81], v[80:81]                    // 00000000542C: D3B14004 1802A150
	v_pk_mul_f32 v[6:7], v[82:83], v[82:83]                    // 000000005434: D3B14006 1802A552
	v_pk_fma_f32 v[4:5], v[4:5], s[78:79], v[8:9]              // 00000000543C: D3B04004 1C209D04
	v_pk_fma_f32 v[6:7], v[6:7], s[78:79], v[8:9]              // 000000005444: D3B04006 1C209D06
	v_pk_mul_f32 v[4:5], v[4:5], v[80:81]                      // 00000000544C: D3B14004 1802A104
	v_pk_mul_f32 v[6:7], v[6:7], v[82:83]                      // 000000005454: D3B14006 1802A506
	v_pk_mul_f32 v[4:5], v[4:5], s[60:61]                      // 00000000545C: D3B14004 18007904
	v_pk_mul_f32 v[6:7], v[6:7], s[60:61]                      // 000000005464: D3B14006 18007906
	v_exp_f32_e32 v4, v4                                       // 00000000546C: 7E084104
	v_exp_f32_e32 v5, v5                                       // 000000005470: 7E0A4105
	v_exp_f32_e32 v6, v6                                       // 000000005474: 7E0C4106
	v_exp_f32_e32 v7, v7                                       // 000000005478: 7E0E4107
	v_add_f32_e64 v4, v4, 1.0                                  // 00000000547C: D1010004 0001E504
	v_add_f32_e64 v5, v5, 1.0                                  // 000000005484: D1010005 0001E505
	v_add_f32_e64 v6, v6, 1.0                                  // 00000000548C: D1010006 0001E506
	v_add_f32_e64 v7, v7, 1.0                                  // 000000005494: D1010007 0001E507
	v_rcp_f32_e32 v4, v4                                       // 00000000549C: 7E084504
	v_rcp_f32_e32 v5, v5                                       // 0000000054A0: 7E0A4505
	v_rcp_f32_e32 v6, v6                                       // 0000000054A4: 7E0C4506
	v_rcp_f32_e32 v7, v7                                       // 0000000054A8: 7E0E4507
	v_mul_f32_e32 v80, v80, v4                                 // 0000000054AC: 0AA00950
	v_mul_f32_e32 v81, v81, v5                                 // 0000000054B0: 0AA20B51
	v_mul_f32_e32 v82, v82, v6                                 // 0000000054B4: 0AA40D52
	v_mul_f32_e32 v83, v83, v7                                 // 0000000054B8: 0AA60F53
	v_mul_f32_e32 v80, v80, v120                               // 0000000054BC: 0AA0F150
	v_mul_f32_e32 v81, v81, v121                               // 0000000054C0: 0AA2F351
	v_mul_f32_e32 v82, v82, v122                               // 0000000054C4: 0AA4F552
	v_mul_f32_e32 v83, v83, v123                               // 0000000054C8: 0AA6F753
	v_pk_mul_f32 v[4:5], v[84:85], v[84:85]                    // 0000000054CC: D3B14004 1802A954
	v_pk_mul_f32 v[6:7], v[86:87], v[86:87]                    // 0000000054D4: D3B14006 1802AD56
	v_pk_fma_f32 v[4:5], v[4:5], s[78:79], v[8:9]              // 0000000054DC: D3B04004 1C209D04
	v_pk_fma_f32 v[6:7], v[6:7], s[78:79], v[8:9]              // 0000000054E4: D3B04006 1C209D06
	v_pk_mul_f32 v[4:5], v[4:5], v[84:85]                      // 0000000054EC: D3B14004 1802A904
	v_pk_mul_f32 v[6:7], v[6:7], v[86:87]                      // 0000000054F4: D3B14006 1802AD06
	v_pk_mul_f32 v[4:5], v[4:5], s[60:61]                      // 0000000054FC: D3B14004 18007904
	v_pk_mul_f32 v[6:7], v[6:7], s[60:61]                      // 000000005504: D3B14006 18007906
	v_exp_f32_e32 v4, v4                                       // 00000000550C: 7E084104
	v_exp_f32_e32 v5, v5                                       // 000000005510: 7E0A4105
	v_exp_f32_e32 v6, v6                                       // 000000005514: 7E0C4106
	v_exp_f32_e32 v7, v7                                       // 000000005518: 7E0E4107
	v_add_f32_e64 v4, v4, 1.0                                  // 00000000551C: D1010004 0001E504
	v_add_f32_e64 v5, v5, 1.0                                  // 000000005524: D1010005 0001E505
	v_add_f32_e64 v6, v6, 1.0                                  // 00000000552C: D1010006 0001E506
	v_add_f32_e64 v7, v7, 1.0                                  // 000000005534: D1010007 0001E507
	v_rcp_f32_e32 v4, v4                                       // 00000000553C: 7E084504
	v_rcp_f32_e32 v5, v5                                       // 000000005540: 7E0A4505
	v_rcp_f32_e32 v6, v6                                       // 000000005544: 7E0C4506
	v_rcp_f32_e32 v7, v7                                       // 000000005548: 7E0E4507
	v_mul_f32_e32 v84, v84, v4                                 // 00000000554C: 0AA80954
	v_mul_f32_e32 v85, v85, v5                                 // 000000005550: 0AAA0B55
	v_mul_f32_e32 v86, v86, v6                                 // 000000005554: 0AAC0D56
	v_mul_f32_e32 v87, v87, v7                                 // 000000005558: 0AAE0F57
	v_mul_f32_e32 v84, v84, v124                               // 00000000555C: 0AA8F954
	v_mul_f32_e32 v85, v85, v125                               // 000000005560: 0AAAFB55
	v_mul_f32_e32 v86, v86, v126                               // 000000005564: 0AACFD56
	v_mul_f32_e32 v87, v87, v127                               // 000000005568: 0AAEFF57
	v_pk_mul_f32 v[4:5], v[88:89], v[88:89]                    // 00000000556C: D3B14004 1802B158
	v_pk_mul_f32 v[6:7], v[90:91], v[90:91]                    // 000000005574: D3B14006 1802B55A
	v_pk_fma_f32 v[4:5], v[4:5], s[78:79], v[8:9]              // 00000000557C: D3B04004 1C209D04
	v_pk_fma_f32 v[6:7], v[6:7], s[78:79], v[8:9]              // 000000005584: D3B04006 1C209D06
	v_pk_mul_f32 v[4:5], v[4:5], v[88:89]                      // 00000000558C: D3B14004 1802B104
	v_pk_mul_f32 v[6:7], v[6:7], v[90:91]                      // 000000005594: D3B14006 1802B506
	v_pk_mul_f32 v[4:5], v[4:5], s[60:61]                      // 00000000559C: D3B14004 18007904
	v_pk_mul_f32 v[6:7], v[6:7], s[60:61]                      // 0000000055A4: D3B14006 18007906
	v_exp_f32_e32 v4, v4                                       // 0000000055AC: 7E084104
	v_exp_f32_e32 v5, v5                                       // 0000000055B0: 7E0A4105
	v_exp_f32_e32 v6, v6                                       // 0000000055B4: 7E0C4106
	v_exp_f32_e32 v7, v7                                       // 0000000055B8: 7E0E4107
	v_add_f32_e64 v4, v4, 1.0                                  // 0000000055BC: D1010004 0001E504
	v_add_f32_e64 v5, v5, 1.0                                  // 0000000055C4: D1010005 0001E505
	v_add_f32_e64 v6, v6, 1.0                                  // 0000000055CC: D1010006 0001E506
	v_add_f32_e64 v7, v7, 1.0                                  // 0000000055D4: D1010007 0001E507
	v_rcp_f32_e32 v4, v4                                       // 0000000055DC: 7E084504
	v_rcp_f32_e32 v5, v5                                       // 0000000055E0: 7E0A4505
	v_rcp_f32_e32 v6, v6                                       // 0000000055E4: 7E0C4506
	v_rcp_f32_e32 v7, v7                                       // 0000000055E8: 7E0E4507
	v_mul_f32_e32 v88, v88, v4                                 // 0000000055EC: 0AB00958
	v_mul_f32_e32 v89, v89, v5                                 // 0000000055F0: 0AB20B59
	v_mul_f32_e32 v90, v90, v6                                 // 0000000055F4: 0AB40D5A
	v_mul_f32_e32 v91, v91, v7                                 // 0000000055F8: 0AB60F5B
	v_mul_f32_e32 v88, v88, v128                               // 0000000055FC: 0AB10158
	v_mul_f32_e32 v89, v89, v129                               // 000000005600: 0AB30359
	v_mul_f32_e32 v90, v90, v130                               // 000000005604: 0AB5055A
	v_mul_f32_e32 v91, v91, v131                               // 000000005608: 0AB7075B
	v_pk_mul_f32 v[4:5], v[92:93], v[92:93]                    // 00000000560C: D3B14004 1802B95C
	v_pk_mul_f32 v[6:7], v[94:95], v[94:95]                    // 000000005614: D3B14006 1802BD5E
	v_pk_fma_f32 v[4:5], v[4:5], s[78:79], v[8:9]              // 00000000561C: D3B04004 1C209D04
	v_pk_fma_f32 v[6:7], v[6:7], s[78:79], v[8:9]              // 000000005624: D3B04006 1C209D06
	v_pk_mul_f32 v[4:5], v[4:5], v[92:93]                      // 00000000562C: D3B14004 1802B904
	v_pk_mul_f32 v[6:7], v[6:7], v[94:95]                      // 000000005634: D3B14006 1802BD06
	v_pk_mul_f32 v[4:5], v[4:5], s[60:61]                      // 00000000563C: D3B14004 18007904
	v_pk_mul_f32 v[6:7], v[6:7], s[60:61]                      // 000000005644: D3B14006 18007906
	v_exp_f32_e32 v4, v4                                       // 00000000564C: 7E084104
	v_exp_f32_e32 v5, v5                                       // 000000005650: 7E0A4105
	v_exp_f32_e32 v6, v6                                       // 000000005654: 7E0C4106
	v_exp_f32_e32 v7, v7                                       // 000000005658: 7E0E4107
	v_add_f32_e64 v4, v4, 1.0                                  // 00000000565C: D1010004 0001E504
	v_add_f32_e64 v5, v5, 1.0                                  // 000000005664: D1010005 0001E505
	v_add_f32_e64 v6, v6, 1.0                                  // 00000000566C: D1010006 0001E506
	v_add_f32_e64 v7, v7, 1.0                                  // 000000005674: D1010007 0001E507
	v_rcp_f32_e32 v4, v4                                       // 00000000567C: 7E084504
	v_rcp_f32_e32 v5, v5                                       // 000000005680: 7E0A4505
	v_rcp_f32_e32 v6, v6                                       // 000000005684: 7E0C4506
	v_rcp_f32_e32 v7, v7                                       // 000000005688: 7E0E4507
	v_mul_f32_e32 v92, v92, v4                                 // 00000000568C: 0AB8095C
	v_mul_f32_e32 v93, v93, v5                                 // 000000005690: 0ABA0B5D
	v_mul_f32_e32 v94, v94, v6                                 // 000000005694: 0ABC0D5E
	v_mul_f32_e32 v95, v95, v7                                 // 000000005698: 0ABE0F5F
	v_mul_f32_e32 v92, v92, v132                               // 00000000569C: 0AB9095C
	v_mul_f32_e32 v93, v93, v133                               // 0000000056A0: 0ABB0B5D
	v_mul_f32_e32 v94, v94, v134                               // 0000000056A4: 0ABD0D5E
	v_mul_f32_e32 v95, v95, v135                               // 0000000056A8: 0ABF0F5F
	v_pk_mul_f32 v[4:5], v[96:97], v[96:97]                    // 0000000056AC: D3B14004 1802C160
	v_pk_mul_f32 v[6:7], v[98:99], v[98:99]                    // 0000000056B4: D3B14006 1802C562
	v_pk_fma_f32 v[4:5], v[4:5], s[78:79], v[8:9]              // 0000000056BC: D3B04004 1C209D04
	v_pk_fma_f32 v[6:7], v[6:7], s[78:79], v[8:9]              // 0000000056C4: D3B04006 1C209D06
	v_pk_mul_f32 v[4:5], v[4:5], v[96:97]                      // 0000000056CC: D3B14004 1802C104
	v_pk_mul_f32 v[6:7], v[6:7], v[98:99]                      // 0000000056D4: D3B14006 1802C506
	v_pk_mul_f32 v[4:5], v[4:5], s[60:61]                      // 0000000056DC: D3B14004 18007904
	v_pk_mul_f32 v[6:7], v[6:7], s[60:61]                      // 0000000056E4: D3B14006 18007906
	v_exp_f32_e32 v4, v4                                       // 0000000056EC: 7E084104
	v_exp_f32_e32 v5, v5                                       // 0000000056F0: 7E0A4105
	v_exp_f32_e32 v6, v6                                       // 0000000056F4: 7E0C4106
	v_exp_f32_e32 v7, v7                                       // 0000000056F8: 7E0E4107
	v_add_f32_e64 v4, v4, 1.0                                  // 0000000056FC: D1010004 0001E504
	v_add_f32_e64 v5, v5, 1.0                                  // 000000005704: D1010005 0001E505
	v_add_f32_e64 v6, v6, 1.0                                  // 00000000570C: D1010006 0001E506
	v_add_f32_e64 v7, v7, 1.0                                  // 000000005714: D1010007 0001E507
	v_rcp_f32_e32 v4, v4                                       // 00000000571C: 7E084504
	v_rcp_f32_e32 v5, v5                                       // 000000005720: 7E0A4505
	v_rcp_f32_e32 v6, v6                                       // 000000005724: 7E0C4506
	v_rcp_f32_e32 v7, v7                                       // 000000005728: 7E0E4507
	v_mul_f32_e32 v96, v96, v4                                 // 00000000572C: 0AC00960
	v_mul_f32_e32 v97, v97, v5                                 // 000000005730: 0AC20B61
	v_mul_f32_e32 v98, v98, v6                                 // 000000005734: 0AC40D62
	v_mul_f32_e32 v99, v99, v7                                 // 000000005738: 0AC60F63
	v_mul_f32_e32 v96, v96, v136                               // 00000000573C: 0AC11160
	v_mul_f32_e32 v97, v97, v137                               // 000000005740: 0AC31361
	v_mul_f32_e32 v98, v98, v138                               // 000000005744: 0AC51562
	v_mul_f32_e32 v99, v99, v139                               // 000000005748: 0AC71763
	v_pk_mul_f32 v[4:5], v[100:101], v[100:101]                // 00000000574C: D3B14004 1802C964
	v_pk_mul_f32 v[6:7], v[102:103], v[102:103]                // 000000005754: D3B14006 1802CD66
	v_pk_fma_f32 v[4:5], v[4:5], s[78:79], v[8:9]              // 00000000575C: D3B04004 1C209D04
	v_pk_fma_f32 v[6:7], v[6:7], s[78:79], v[8:9]              // 000000005764: D3B04006 1C209D06
	v_pk_mul_f32 v[4:5], v[4:5], v[100:101]                    // 00000000576C: D3B14004 1802C904
	v_pk_mul_f32 v[6:7], v[6:7], v[102:103]                    // 000000005774: D3B14006 1802CD06
	v_pk_mul_f32 v[4:5], v[4:5], s[60:61]                      // 00000000577C: D3B14004 18007904
	v_pk_mul_f32 v[6:7], v[6:7], s[60:61]                      // 000000005784: D3B14006 18007906
	v_exp_f32_e32 v4, v4                                       // 00000000578C: 7E084104
	v_exp_f32_e32 v5, v5                                       // 000000005790: 7E0A4105
	v_exp_f32_e32 v6, v6                                       // 000000005794: 7E0C4106
	v_exp_f32_e32 v7, v7                                       // 000000005798: 7E0E4107
	v_add_f32_e64 v4, v4, 1.0                                  // 00000000579C: D1010004 0001E504
	v_add_f32_e64 v5, v5, 1.0                                  // 0000000057A4: D1010005 0001E505
	v_add_f32_e64 v6, v6, 1.0                                  // 0000000057AC: D1010006 0001E506
	v_add_f32_e64 v7, v7, 1.0                                  // 0000000057B4: D1010007 0001E507
	v_rcp_f32_e32 v4, v4                                       // 0000000057BC: 7E084504
	v_rcp_f32_e32 v5, v5                                       // 0000000057C0: 7E0A4505
	v_rcp_f32_e32 v6, v6                                       // 0000000057C4: 7E0C4506
	v_rcp_f32_e32 v7, v7                                       // 0000000057C8: 7E0E4507
	v_mul_f32_e32 v100, v100, v4                               // 0000000057CC: 0AC80964
	v_mul_f32_e32 v101, v101, v5                               // 0000000057D0: 0ACA0B65
	v_mul_f32_e32 v102, v102, v6                               // 0000000057D4: 0ACC0D66
	v_mul_f32_e32 v103, v103, v7                               // 0000000057D8: 0ACE0F67
	v_mul_f32_e32 v100, v100, v140                             // 0000000057DC: 0AC91964
	v_mul_f32_e32 v101, v101, v141                             // 0000000057E0: 0ACB1B65
	v_mul_f32_e32 v102, v102, v142                             // 0000000057E4: 0ACD1D66
	v_mul_f32_e32 v103, v103, v143                             // 0000000057E8: 0ACF1F67
	s_branch label_0CBC                                        // 0000000057EC: BF820140

00000000000057f0 <label_0B7C>:
	v_mul_f32_e64 v4, -v64, s6                                 // 0000000057F0: D1050004 20000D40
	v_mul_f32_e64 v5, -v65, s6                                 // 0000000057F8: D1050005 20000D41
	v_mul_f32_e64 v6, -v66, s6                                 // 000000005800: D1050006 20000D42
	v_mul_f32_e64 v7, -v67, s6                                 // 000000005808: D1050007 20000D43
	v_exp_f32_e32 v4, v4                                       // 000000005810: 7E084104
	v_exp_f32_e32 v5, v5                                       // 000000005814: 7E0A4105
	v_exp_f32_e32 v6, v6                                       // 000000005818: 7E0C4106
	v_exp_f32_e32 v7, v7                                       // 00000000581C: 7E0E4107
	v_add_f32_e64 v4, v4, 1.0                                  // 000000005820: D1010004 0001E504
	v_add_f32_e64 v5, v5, 1.0                                  // 000000005828: D1010005 0001E505
	v_add_f32_e64 v6, v6, 1.0                                  // 000000005830: D1010006 0001E506
	v_add_f32_e64 v7, v7, 1.0                                  // 000000005838: D1010007 0001E507
	v_rcp_f32_e32 v4, v4                                       // 000000005840: 7E084504
	v_rcp_f32_e32 v5, v5                                       // 000000005844: 7E0A4505
	v_rcp_f32_e32 v6, v6                                       // 000000005848: 7E0C4506
	v_rcp_f32_e32 v7, v7                                       // 00000000584C: 7E0E4507
	v_mul_f32_e32 v64, v64, v4                                 // 000000005850: 0A800940
	v_mul_f32_e32 v65, v65, v5                                 // 000000005854: 0A820B41
	v_mul_f32_e32 v66, v66, v6                                 // 000000005858: 0A840D42
	v_mul_f32_e32 v67, v67, v7                                 // 00000000585C: 0A860F43
	v_mul_f32_e32 v64, v64, v104                               // 000000005860: 0A80D140
	v_mul_f32_e32 v65, v65, v105                               // 000000005864: 0A82D341
	v_mul_f32_e32 v66, v66, v106                               // 000000005868: 0A84D542
	v_mul_f32_e32 v67, v67, v107                               // 00000000586C: 0A86D743
	v_mul_f32_e64 v4, -v68, s6                                 // 000000005870: D1050004 20000D44
	v_mul_f32_e64 v5, -v69, s6                                 // 000000005878: D1050005 20000D45
	v_mul_f32_e64 v6, -v70, s6                                 // 000000005880: D1050006 20000D46
	v_mul_f32_e64 v7, -v71, s6                                 // 000000005888: D1050007 20000D47
	v_exp_f32_e32 v4, v4                                       // 000000005890: 7E084104
	v_exp_f32_e32 v5, v5                                       // 000000005894: 7E0A4105
	v_exp_f32_e32 v6, v6                                       // 000000005898: 7E0C4106
	v_exp_f32_e32 v7, v7                                       // 00000000589C: 7E0E4107
	v_add_f32_e64 v4, v4, 1.0                                  // 0000000058A0: D1010004 0001E504
	v_add_f32_e64 v5, v5, 1.0                                  // 0000000058A8: D1010005 0001E505
	v_add_f32_e64 v6, v6, 1.0                                  // 0000000058B0: D1010006 0001E506
	v_add_f32_e64 v7, v7, 1.0                                  // 0000000058B8: D1010007 0001E507
	v_rcp_f32_e32 v4, v4                                       // 0000000058C0: 7E084504
	v_rcp_f32_e32 v5, v5                                       // 0000000058C4: 7E0A4505
	v_rcp_f32_e32 v6, v6                                       // 0000000058C8: 7E0C4506
	v_rcp_f32_e32 v7, v7                                       // 0000000058CC: 7E0E4507
	v_mul_f32_e32 v68, v68, v4                                 // 0000000058D0: 0A880944
	v_mul_f32_e32 v69, v69, v5                                 // 0000000058D4: 0A8A0B45
	v_mul_f32_e32 v70, v70, v6                                 // 0000000058D8: 0A8C0D46
	v_mul_f32_e32 v71, v71, v7                                 // 0000000058DC: 0A8E0F47
	v_mul_f32_e32 v68, v68, v108                               // 0000000058E0: 0A88D944
	v_mul_f32_e32 v69, v69, v109                               // 0000000058E4: 0A8ADB45
	v_mul_f32_e32 v70, v70, v110                               // 0000000058E8: 0A8CDD46
	v_mul_f32_e32 v71, v71, v111                               // 0000000058EC: 0A8EDF47
	v_mul_f32_e64 v4, -v72, s6                                 // 0000000058F0: D1050004 20000D48
	v_mul_f32_e64 v5, -v73, s6                                 // 0000000058F8: D1050005 20000D49
	v_mul_f32_e64 v6, -v74, s6                                 // 000000005900: D1050006 20000D4A
	v_mul_f32_e64 v7, -v75, s6                                 // 000000005908: D1050007 20000D4B
	v_exp_f32_e32 v4, v4                                       // 000000005910: 7E084104
	v_exp_f32_e32 v5, v5                                       // 000000005914: 7E0A4105
	v_exp_f32_e32 v6, v6                                       // 000000005918: 7E0C4106
	v_exp_f32_e32 v7, v7                                       // 00000000591C: 7E0E4107
	v_add_f32_e64 v4, v4, 1.0                                  // 000000005920: D1010004 0001E504
	v_add_f32_e64 v5, v5, 1.0                                  // 000000005928: D1010005 0001E505
	v_add_f32_e64 v6, v6, 1.0                                  // 000000005930: D1010006 0001E506
	v_add_f32_e64 v7, v7, 1.0                                  // 000000005938: D1010007 0001E507
	v_rcp_f32_e32 v4, v4                                       // 000000005940: 7E084504
	v_rcp_f32_e32 v5, v5                                       // 000000005944: 7E0A4505
	v_rcp_f32_e32 v6, v6                                       // 000000005948: 7E0C4506
	v_rcp_f32_e32 v7, v7                                       // 00000000594C: 7E0E4507
	v_mul_f32_e32 v72, v72, v4                                 // 000000005950: 0A900948
	v_mul_f32_e32 v73, v73, v5                                 // 000000005954: 0A920B49
	v_mul_f32_e32 v74, v74, v6                                 // 000000005958: 0A940D4A
	v_mul_f32_e32 v75, v75, v7                                 // 00000000595C: 0A960F4B
	v_mul_f32_e32 v72, v72, v112                               // 000000005960: 0A90E148
	v_mul_f32_e32 v73, v73, v113                               // 000000005964: 0A92E349
	v_mul_f32_e32 v74, v74, v114                               // 000000005968: 0A94E54A
	v_mul_f32_e32 v75, v75, v115                               // 00000000596C: 0A96E74B
	v_mul_f32_e64 v4, -v76, s6                                 // 000000005970: D1050004 20000D4C
	v_mul_f32_e64 v5, -v77, s6                                 // 000000005978: D1050005 20000D4D
	v_mul_f32_e64 v6, -v78, s6                                 // 000000005980: D1050006 20000D4E
	v_mul_f32_e64 v7, -v79, s6                                 // 000000005988: D1050007 20000D4F
	v_exp_f32_e32 v4, v4                                       // 000000005990: 7E084104
	v_exp_f32_e32 v5, v5                                       // 000000005994: 7E0A4105
	v_exp_f32_e32 v6, v6                                       // 000000005998: 7E0C4106
	v_exp_f32_e32 v7, v7                                       // 00000000599C: 7E0E4107
	v_add_f32_e64 v4, v4, 1.0                                  // 0000000059A0: D1010004 0001E504
	v_add_f32_e64 v5, v5, 1.0                                  // 0000000059A8: D1010005 0001E505
	v_add_f32_e64 v6, v6, 1.0                                  // 0000000059B0: D1010006 0001E506
	v_add_f32_e64 v7, v7, 1.0                                  // 0000000059B8: D1010007 0001E507
	v_rcp_f32_e32 v4, v4                                       // 0000000059C0: 7E084504
	v_rcp_f32_e32 v5, v5                                       // 0000000059C4: 7E0A4505
	v_rcp_f32_e32 v6, v6                                       // 0000000059C8: 7E0C4506
	v_rcp_f32_e32 v7, v7                                       // 0000000059CC: 7E0E4507
	v_mul_f32_e32 v76, v76, v4                                 // 0000000059D0: 0A98094C
	v_mul_f32_e32 v77, v77, v5                                 // 0000000059D4: 0A9A0B4D
	v_mul_f32_e32 v78, v78, v6                                 // 0000000059D8: 0A9C0D4E
	v_mul_f32_e32 v79, v79, v7                                 // 0000000059DC: 0A9E0F4F
	v_mul_f32_e32 v76, v76, v116                               // 0000000059E0: 0A98E94C
	v_mul_f32_e32 v77, v77, v117                               // 0000000059E4: 0A9AEB4D
	v_mul_f32_e32 v78, v78, v118                               // 0000000059E8: 0A9CED4E
	v_mul_f32_e32 v79, v79, v119                               // 0000000059EC: 0A9EEF4F
	v_mul_f32_e64 v4, -v80, s6                                 // 0000000059F0: D1050004 20000D50
	v_mul_f32_e64 v5, -v81, s6                                 // 0000000059F8: D1050005 20000D51
	v_mul_f32_e64 v6, -v82, s6                                 // 000000005A00: D1050006 20000D52
	v_mul_f32_e64 v7, -v83, s6                                 // 000000005A08: D1050007 20000D53
	v_exp_f32_e32 v4, v4                                       // 000000005A10: 7E084104
	v_exp_f32_e32 v5, v5                                       // 000000005A14: 7E0A4105
	v_exp_f32_e32 v6, v6                                       // 000000005A18: 7E0C4106
	v_exp_f32_e32 v7, v7                                       // 000000005A1C: 7E0E4107
	v_add_f32_e64 v4, v4, 1.0                                  // 000000005A20: D1010004 0001E504
	v_add_f32_e64 v5, v5, 1.0                                  // 000000005A28: D1010005 0001E505
	v_add_f32_e64 v6, v6, 1.0                                  // 000000005A30: D1010006 0001E506
	v_add_f32_e64 v7, v7, 1.0                                  // 000000005A38: D1010007 0001E507
	v_rcp_f32_e32 v4, v4                                       // 000000005A40: 7E084504
	v_rcp_f32_e32 v5, v5                                       // 000000005A44: 7E0A4505
	v_rcp_f32_e32 v6, v6                                       // 000000005A48: 7E0C4506
	v_rcp_f32_e32 v7, v7                                       // 000000005A4C: 7E0E4507
	v_mul_f32_e32 v80, v80, v4                                 // 000000005A50: 0AA00950
	v_mul_f32_e32 v81, v81, v5                                 // 000000005A54: 0AA20B51
	v_mul_f32_e32 v82, v82, v6                                 // 000000005A58: 0AA40D52
	v_mul_f32_e32 v83, v83, v7                                 // 000000005A5C: 0AA60F53
	v_mul_f32_e32 v80, v80, v120                               // 000000005A60: 0AA0F150
	v_mul_f32_e32 v81, v81, v121                               // 000000005A64: 0AA2F351
	v_mul_f32_e32 v82, v82, v122                               // 000000005A68: 0AA4F552
	v_mul_f32_e32 v83, v83, v123                               // 000000005A6C: 0AA6F753
	v_mul_f32_e64 v4, -v84, s6                                 // 000000005A70: D1050004 20000D54
	v_mul_f32_e64 v5, -v85, s6                                 // 000000005A78: D1050005 20000D55
	v_mul_f32_e64 v6, -v86, s6                                 // 000000005A80: D1050006 20000D56
	v_mul_f32_e64 v7, -v87, s6                                 // 000000005A88: D1050007 20000D57
	v_exp_f32_e32 v4, v4                                       // 000000005A90: 7E084104
	v_exp_f32_e32 v5, v5                                       // 000000005A94: 7E0A4105
	v_exp_f32_e32 v6, v6                                       // 000000005A98: 7E0C4106
	v_exp_f32_e32 v7, v7                                       // 000000005A9C: 7E0E4107
	v_add_f32_e64 v4, v4, 1.0                                  // 000000005AA0: D1010004 0001E504
	v_add_f32_e64 v5, v5, 1.0                                  // 000000005AA8: D1010005 0001E505
	v_add_f32_e64 v6, v6, 1.0                                  // 000000005AB0: D1010006 0001E506
	v_add_f32_e64 v7, v7, 1.0                                  // 000000005AB8: D1010007 0001E507
	v_rcp_f32_e32 v4, v4                                       // 000000005AC0: 7E084504
	v_rcp_f32_e32 v5, v5                                       // 000000005AC4: 7E0A4505
	v_rcp_f32_e32 v6, v6                                       // 000000005AC8: 7E0C4506
	v_rcp_f32_e32 v7, v7                                       // 000000005ACC: 7E0E4507
	v_mul_f32_e32 v84, v84, v4                                 // 000000005AD0: 0AA80954
	v_mul_f32_e32 v85, v85, v5                                 // 000000005AD4: 0AAA0B55
	v_mul_f32_e32 v86, v86, v6                                 // 000000005AD8: 0AAC0D56
	v_mul_f32_e32 v87, v87, v7                                 // 000000005ADC: 0AAE0F57
	v_mul_f32_e32 v84, v84, v124                               // 000000005AE0: 0AA8F954
	v_mul_f32_e32 v85, v85, v125                               // 000000005AE4: 0AAAFB55
	v_mul_f32_e32 v86, v86, v126                               // 000000005AE8: 0AACFD56
	v_mul_f32_e32 v87, v87, v127                               // 000000005AEC: 0AAEFF57
	v_mul_f32_e64 v4, -v88, s6                                 // 000000005AF0: D1050004 20000D58
	v_mul_f32_e64 v5, -v89, s6                                 // 000000005AF8: D1050005 20000D59
	v_mul_f32_e64 v6, -v90, s6                                 // 000000005B00: D1050006 20000D5A
	v_mul_f32_e64 v7, -v91, s6                                 // 000000005B08: D1050007 20000D5B
	v_exp_f32_e32 v4, v4                                       // 000000005B10: 7E084104
	v_exp_f32_e32 v5, v5                                       // 000000005B14: 7E0A4105
	v_exp_f32_e32 v6, v6                                       // 000000005B18: 7E0C4106
	v_exp_f32_e32 v7, v7                                       // 000000005B1C: 7E0E4107
	v_add_f32_e64 v4, v4, 1.0                                  // 000000005B20: D1010004 0001E504
	v_add_f32_e64 v5, v5, 1.0                                  // 000000005B28: D1010005 0001E505
	v_add_f32_e64 v6, v6, 1.0                                  // 000000005B30: D1010006 0001E506
	v_add_f32_e64 v7, v7, 1.0                                  // 000000005B38: D1010007 0001E507
	v_rcp_f32_e32 v4, v4                                       // 000000005B40: 7E084504
	v_rcp_f32_e32 v5, v5                                       // 000000005B44: 7E0A4505
	v_rcp_f32_e32 v6, v6                                       // 000000005B48: 7E0C4506
	v_rcp_f32_e32 v7, v7                                       // 000000005B4C: 7E0E4507
	v_mul_f32_e32 v88, v88, v4                                 // 000000005B50: 0AB00958
	v_mul_f32_e32 v89, v89, v5                                 // 000000005B54: 0AB20B59
	v_mul_f32_e32 v90, v90, v6                                 // 000000005B58: 0AB40D5A
	v_mul_f32_e32 v91, v91, v7                                 // 000000005B5C: 0AB60F5B
	v_mul_f32_e32 v88, v88, v128                               // 000000005B60: 0AB10158
	v_mul_f32_e32 v89, v89, v129                               // 000000005B64: 0AB30359
	v_mul_f32_e32 v90, v90, v130                               // 000000005B68: 0AB5055A
	v_mul_f32_e32 v91, v91, v131                               // 000000005B6C: 0AB7075B
	v_mul_f32_e64 v4, -v92, s6                                 // 000000005B70: D1050004 20000D5C
	v_mul_f32_e64 v5, -v93, s6                                 // 000000005B78: D1050005 20000D5D
	v_mul_f32_e64 v6, -v94, s6                                 // 000000005B80: D1050006 20000D5E
	v_mul_f32_e64 v7, -v95, s6                                 // 000000005B88: D1050007 20000D5F
	v_exp_f32_e32 v4, v4                                       // 000000005B90: 7E084104
	v_exp_f32_e32 v5, v5                                       // 000000005B94: 7E0A4105
	v_exp_f32_e32 v6, v6                                       // 000000005B98: 7E0C4106
	v_exp_f32_e32 v7, v7                                       // 000000005B9C: 7E0E4107
	v_add_f32_e64 v4, v4, 1.0                                  // 000000005BA0: D1010004 0001E504
	v_add_f32_e64 v5, v5, 1.0                                  // 000000005BA8: D1010005 0001E505
	v_add_f32_e64 v6, v6, 1.0                                  // 000000005BB0: D1010006 0001E506
	v_add_f32_e64 v7, v7, 1.0                                  // 000000005BB8: D1010007 0001E507
	v_rcp_f32_e32 v4, v4                                       // 000000005BC0: 7E084504
	v_rcp_f32_e32 v5, v5                                       // 000000005BC4: 7E0A4505
	v_rcp_f32_e32 v6, v6                                       // 000000005BC8: 7E0C4506
	v_rcp_f32_e32 v7, v7                                       // 000000005BCC: 7E0E4507
	v_mul_f32_e32 v92, v92, v4                                 // 000000005BD0: 0AB8095C
	v_mul_f32_e32 v93, v93, v5                                 // 000000005BD4: 0ABA0B5D
	v_mul_f32_e32 v94, v94, v6                                 // 000000005BD8: 0ABC0D5E
	v_mul_f32_e32 v95, v95, v7                                 // 000000005BDC: 0ABE0F5F
	v_mul_f32_e32 v92, v92, v132                               // 000000005BE0: 0AB9095C
	v_mul_f32_e32 v93, v93, v133                               // 000000005BE4: 0ABB0B5D
	v_mul_f32_e32 v94, v94, v134                               // 000000005BE8: 0ABD0D5E
	v_mul_f32_e32 v95, v95, v135                               // 000000005BEC: 0ABF0F5F
	v_mul_f32_e64 v4, -v96, s6                                 // 000000005BF0: D1050004 20000D60
	v_mul_f32_e64 v5, -v97, s6                                 // 000000005BF8: D1050005 20000D61
	v_mul_f32_e64 v6, -v98, s6                                 // 000000005C00: D1050006 20000D62
	v_mul_f32_e64 v7, -v99, s6                                 // 000000005C08: D1050007 20000D63
	v_exp_f32_e32 v4, v4                                       // 000000005C10: 7E084104
	v_exp_f32_e32 v5, v5                                       // 000000005C14: 7E0A4105
	v_exp_f32_e32 v6, v6                                       // 000000005C18: 7E0C4106
	v_exp_f32_e32 v7, v7                                       // 000000005C1C: 7E0E4107
	v_add_f32_e64 v4, v4, 1.0                                  // 000000005C20: D1010004 0001E504
	v_add_f32_e64 v5, v5, 1.0                                  // 000000005C28: D1010005 0001E505
	v_add_f32_e64 v6, v6, 1.0                                  // 000000005C30: D1010006 0001E506
	v_add_f32_e64 v7, v7, 1.0                                  // 000000005C38: D1010007 0001E507
	v_rcp_f32_e32 v4, v4                                       // 000000005C40: 7E084504
	v_rcp_f32_e32 v5, v5                                       // 000000005C44: 7E0A4505
	v_rcp_f32_e32 v6, v6                                       // 000000005C48: 7E0C4506
	v_rcp_f32_e32 v7, v7                                       // 000000005C4C: 7E0E4507
	v_mul_f32_e32 v96, v96, v4                                 // 000000005C50: 0AC00960
	v_mul_f32_e32 v97, v97, v5                                 // 000000005C54: 0AC20B61
	v_mul_f32_e32 v98, v98, v6                                 // 000000005C58: 0AC40D62
	v_mul_f32_e32 v99, v99, v7                                 // 000000005C5C: 0AC60F63
	v_mul_f32_e32 v96, v96, v136                               // 000000005C60: 0AC11160
	v_mul_f32_e32 v97, v97, v137                               // 000000005C64: 0AC31361
	v_mul_f32_e32 v98, v98, v138                               // 000000005C68: 0AC51562
	v_mul_f32_e32 v99, v99, v139                               // 000000005C6C: 0AC71763
	v_mul_f32_e64 v4, -v100, s6                                // 000000005C70: D1050004 20000D64
	v_mul_f32_e64 v5, -v101, s6                                // 000000005C78: D1050005 20000D65
	v_mul_f32_e64 v6, -v102, s6                                // 000000005C80: D1050006 20000D66
	v_mul_f32_e64 v7, -v103, s6                                // 000000005C88: D1050007 20000D67
	v_exp_f32_e32 v4, v4                                       // 000000005C90: 7E084104
	v_exp_f32_e32 v5, v5                                       // 000000005C94: 7E0A4105
	v_exp_f32_e32 v6, v6                                       // 000000005C98: 7E0C4106
	v_exp_f32_e32 v7, v7                                       // 000000005C9C: 7E0E4107
	v_add_f32_e64 v4, v4, 1.0                                  // 000000005CA0: D1010004 0001E504
	v_add_f32_e64 v5, v5, 1.0                                  // 000000005CA8: D1010005 0001E505
	v_add_f32_e64 v6, v6, 1.0                                  // 000000005CB0: D1010006 0001E506
	v_add_f32_e64 v7, v7, 1.0                                  // 000000005CB8: D1010007 0001E507
	v_rcp_f32_e32 v4, v4                                       // 000000005CC0: 7E084504
	v_rcp_f32_e32 v5, v5                                       // 000000005CC4: 7E0A4505
	v_rcp_f32_e32 v6, v6                                       // 000000005CC8: 7E0C4506
	v_rcp_f32_e32 v7, v7                                       // 000000005CCC: 7E0E4507
	v_mul_f32_e32 v100, v100, v4                               // 000000005CD0: 0AC80964
	v_mul_f32_e32 v101, v101, v5                               // 000000005CD4: 0ACA0B65
	v_mul_f32_e32 v102, v102, v6                               // 000000005CD8: 0ACC0D66
	v_mul_f32_e32 v103, v103, v7                               // 000000005CDC: 0ACE0F67
	v_mul_f32_e32 v100, v100, v140                             // 000000005CE0: 0AC91964
	v_mul_f32_e32 v101, v101, v141                             // 000000005CE4: 0ACB1B65
	v_mul_f32_e32 v102, v102, v142                             // 000000005CE8: 0ACD1D66
	v_mul_f32_e32 v103, v103, v143                             // 000000005CEC: 0ACF1F67

0000000000005cf0 <label_0CBC>:
	v_cmp_u_f32_e64 s[46:47], v64, v64                         // 000000005CF0: D048002E 00028140
	v_add3_u32 v16, v64, v19, 1                                // 000000005CF8: D1FF0010 02062740
	v_cndmask_b32_e64 v4, v16, v18, s[46:47]                   // 000000005D00: D1000004 00BA2510
	v_cmp_u_f32_e64 s[46:47], v65, v65                         // 000000005D08: D048002E 00028341
	v_add3_u32 v16, v65, v19, 1                                // 000000005D10: D1FF0010 02062741
	v_cndmask_b32_e64 v5, v16, v18, s[46:47]                   // 000000005D18: D1000005 00BA2510
	v_perm_b32 v64, v5, v4, s52                                // 000000005D20: D1ED0040 00D20905
	v_cmp_u_f32_e64 s[46:47], v66, v66                         // 000000005D28: D048002E 00028542
	v_add3_u32 v16, v66, v19, 1                                // 000000005D30: D1FF0010 02062742
	v_cndmask_b32_e64 v4, v16, v18, s[46:47]                   // 000000005D38: D1000004 00BA2510
	v_cmp_u_f32_e64 s[46:47], v67, v67                         // 000000005D40: D048002E 00028743
	v_add3_u32 v16, v67, v19, 1                                // 000000005D48: D1FF0010 02062743
	v_cndmask_b32_e64 v5, v16, v18, s[46:47]                   // 000000005D50: D1000005 00BA2510
	v_perm_b32 v65, v5, v4, s52                                // 000000005D58: D1ED0041 00D20905
	v_cmp_u_f32_e64 s[46:47], v68, v68                         // 000000005D60: D048002E 00028944
	v_add3_u32 v16, v68, v19, 1                                // 000000005D68: D1FF0010 02062744
	v_cndmask_b32_e64 v4, v16, v18, s[46:47]                   // 000000005D70: D1000004 00BA2510
	v_cmp_u_f32_e64 s[46:47], v69, v69                         // 000000005D78: D048002E 00028B45
	v_add3_u32 v16, v69, v19, 1                                // 000000005D80: D1FF0010 02062745
	v_cndmask_b32_e64 v5, v16, v18, s[46:47]                   // 000000005D88: D1000005 00BA2510
	v_perm_b32 v66, v5, v4, s52                                // 000000005D90: D1ED0042 00D20905
	v_cmp_u_f32_e64 s[46:47], v70, v70                         // 000000005D98: D048002E 00028D46
	v_add3_u32 v16, v70, v19, 1                                // 000000005DA0: D1FF0010 02062746
	v_cndmask_b32_e64 v4, v16, v18, s[46:47]                   // 000000005DA8: D1000004 00BA2510
	v_cmp_u_f32_e64 s[46:47], v71, v71                         // 000000005DB0: D048002E 00028F47
	v_add3_u32 v16, v71, v19, 1                                // 000000005DB8: D1FF0010 02062747
	v_cndmask_b32_e64 v5, v16, v18, s[46:47]                   // 000000005DC0: D1000005 00BA2510
	v_perm_b32 v67, v5, v4, s52                                // 000000005DC8: D1ED0043 00D20905
	v_cmp_u_f32_e64 s[46:47], v72, v72                         // 000000005DD0: D048002E 00029148
	v_add3_u32 v16, v72, v19, 1                                // 000000005DD8: D1FF0010 02062748
	v_cndmask_b32_e64 v4, v16, v18, s[46:47]                   // 000000005DE0: D1000004 00BA2510
	v_cmp_u_f32_e64 s[46:47], v73, v73                         // 000000005DE8: D048002E 00029349
	v_add3_u32 v16, v73, v19, 1                                // 000000005DF0: D1FF0010 02062749
	v_cndmask_b32_e64 v5, v16, v18, s[46:47]                   // 000000005DF8: D1000005 00BA2510
	v_perm_b32 v68, v5, v4, s52                                // 000000005E00: D1ED0044 00D20905
	v_cmp_u_f32_e64 s[46:47], v74, v74                         // 000000005E08: D048002E 0002954A
	v_add3_u32 v16, v74, v19, 1                                // 000000005E10: D1FF0010 0206274A
	v_cndmask_b32_e64 v4, v16, v18, s[46:47]                   // 000000005E18: D1000004 00BA2510
	v_cmp_u_f32_e64 s[46:47], v75, v75                         // 000000005E20: D048002E 0002974B
	v_add3_u32 v16, v75, v19, 1                                // 000000005E28: D1FF0010 0206274B
	v_cndmask_b32_e64 v5, v16, v18, s[46:47]                   // 000000005E30: D1000005 00BA2510
	v_perm_b32 v69, v5, v4, s52                                // 000000005E38: D1ED0045 00D20905
	v_cmp_u_f32_e64 s[46:47], v76, v76                         // 000000005E40: D048002E 0002994C
	v_add3_u32 v16, v76, v19, 1                                // 000000005E48: D1FF0010 0206274C
	v_cndmask_b32_e64 v4, v16, v18, s[46:47]                   // 000000005E50: D1000004 00BA2510
	v_cmp_u_f32_e64 s[46:47], v77, v77                         // 000000005E58: D048002E 00029B4D
	v_add3_u32 v16, v77, v19, 1                                // 000000005E60: D1FF0010 0206274D
	v_cndmask_b32_e64 v5, v16, v18, s[46:47]                   // 000000005E68: D1000005 00BA2510
	v_perm_b32 v70, v5, v4, s52                                // 000000005E70: D1ED0046 00D20905
	v_cmp_u_f32_e64 s[46:47], v78, v78                         // 000000005E78: D048002E 00029D4E
	v_add3_u32 v16, v78, v19, 1                                // 000000005E80: D1FF0010 0206274E
	v_cndmask_b32_e64 v4, v16, v18, s[46:47]                   // 000000005E88: D1000004 00BA2510
	v_cmp_u_f32_e64 s[46:47], v79, v79                         // 000000005E90: D048002E 00029F4F
	v_add3_u32 v16, v79, v19, 1                                // 000000005E98: D1FF0010 0206274F
	v_cndmask_b32_e64 v5, v16, v18, s[46:47]                   // 000000005EA0: D1000005 00BA2510
	v_perm_b32 v71, v5, v4, s52                                // 000000005EA8: D1ED0047 00D20905
	v_cmp_u_f32_e64 s[46:47], v80, v80                         // 000000005EB0: D048002E 0002A150
	v_add3_u32 v16, v80, v19, 1                                // 000000005EB8: D1FF0010 02062750
	v_cndmask_b32_e64 v4, v16, v18, s[46:47]                   // 000000005EC0: D1000004 00BA2510
	v_cmp_u_f32_e64 s[46:47], v81, v81                         // 000000005EC8: D048002E 0002A351
	v_add3_u32 v16, v81, v19, 1                                // 000000005ED0: D1FF0010 02062751
	v_cndmask_b32_e64 v5, v16, v18, s[46:47]                   // 000000005ED8: D1000005 00BA2510
	v_perm_b32 v72, v5, v4, s52                                // 000000005EE0: D1ED0048 00D20905
	v_cmp_u_f32_e64 s[46:47], v82, v82                         // 000000005EE8: D048002E 0002A552
	v_add3_u32 v16, v82, v19, 1                                // 000000005EF0: D1FF0010 02062752
	v_cndmask_b32_e64 v4, v16, v18, s[46:47]                   // 000000005EF8: D1000004 00BA2510
	v_cmp_u_f32_e64 s[46:47], v83, v83                         // 000000005F00: D048002E 0002A753
	v_add3_u32 v16, v83, v19, 1                                // 000000005F08: D1FF0010 02062753
	v_cndmask_b32_e64 v5, v16, v18, s[46:47]                   // 000000005F10: D1000005 00BA2510
	v_perm_b32 v73, v5, v4, s52                                // 000000005F18: D1ED0049 00D20905
	v_cmp_u_f32_e64 s[46:47], v84, v84                         // 000000005F20: D048002E 0002A954
	v_add3_u32 v16, v84, v19, 1                                // 000000005F28: D1FF0010 02062754
	v_cndmask_b32_e64 v4, v16, v18, s[46:47]                   // 000000005F30: D1000004 00BA2510
	v_cmp_u_f32_e64 s[46:47], v85, v85                         // 000000005F38: D048002E 0002AB55
	v_add3_u32 v16, v85, v19, 1                                // 000000005F40: D1FF0010 02062755
	v_cndmask_b32_e64 v5, v16, v18, s[46:47]                   // 000000005F48: D1000005 00BA2510
	v_perm_b32 v74, v5, v4, s52                                // 000000005F50: D1ED004A 00D20905
	v_cmp_u_f32_e64 s[46:47], v86, v86                         // 000000005F58: D048002E 0002AD56
	v_add3_u32 v16, v86, v19, 1                                // 000000005F60: D1FF0010 02062756
	v_cndmask_b32_e64 v4, v16, v18, s[46:47]                   // 000000005F68: D1000004 00BA2510
	v_cmp_u_f32_e64 s[46:47], v87, v87                         // 000000005F70: D048002E 0002AF57
	v_add3_u32 v16, v87, v19, 1                                // 000000005F78: D1FF0010 02062757
	v_cndmask_b32_e64 v5, v16, v18, s[46:47]                   // 000000005F80: D1000005 00BA2510
	v_perm_b32 v75, v5, v4, s52                                // 000000005F88: D1ED004B 00D20905
	v_cmp_u_f32_e64 s[46:47], v88, v88                         // 000000005F90: D048002E 0002B158
	v_add3_u32 v16, v88, v19, 1                                // 000000005F98: D1FF0010 02062758
	v_cndmask_b32_e64 v4, v16, v18, s[46:47]                   // 000000005FA0: D1000004 00BA2510
	v_cmp_u_f32_e64 s[46:47], v89, v89                         // 000000005FA8: D048002E 0002B359
	v_add3_u32 v16, v89, v19, 1                                // 000000005FB0: D1FF0010 02062759
	v_cndmask_b32_e64 v5, v16, v18, s[46:47]                   // 000000005FB8: D1000005 00BA2510
	v_perm_b32 v76, v5, v4, s52                                // 000000005FC0: D1ED004C 00D20905
	v_cmp_u_f32_e64 s[46:47], v90, v90                         // 000000005FC8: D048002E 0002B55A
	v_add3_u32 v16, v90, v19, 1                                // 000000005FD0: D1FF0010 0206275A
	v_cndmask_b32_e64 v4, v16, v18, s[46:47]                   // 000000005FD8: D1000004 00BA2510
	v_cmp_u_f32_e64 s[46:47], v91, v91                         // 000000005FE0: D048002E 0002B75B
	v_add3_u32 v16, v91, v19, 1                                // 000000005FE8: D1FF0010 0206275B
	v_cndmask_b32_e64 v5, v16, v18, s[46:47]                   // 000000005FF0: D1000005 00BA2510
	v_perm_b32 v77, v5, v4, s52                                // 000000005FF8: D1ED004D 00D20905
	v_cmp_u_f32_e64 s[46:47], v92, v92                         // 000000006000: D048002E 0002B95C
	v_add3_u32 v16, v92, v19, 1                                // 000000006008: D1FF0010 0206275C
	v_cndmask_b32_e64 v4, v16, v18, s[46:47]                   // 000000006010: D1000004 00BA2510
	v_cmp_u_f32_e64 s[46:47], v93, v93                         // 000000006018: D048002E 0002BB5D
	v_add3_u32 v16, v93, v19, 1                                // 000000006020: D1FF0010 0206275D
	v_cndmask_b32_e64 v5, v16, v18, s[46:47]                   // 000000006028: D1000005 00BA2510
	v_perm_b32 v78, v5, v4, s52                                // 000000006030: D1ED004E 00D20905
	v_cmp_u_f32_e64 s[46:47], v94, v94                         // 000000006038: D048002E 0002BD5E
	v_add3_u32 v16, v94, v19, 1                                // 000000006040: D1FF0010 0206275E
	v_cndmask_b32_e64 v4, v16, v18, s[46:47]                   // 000000006048: D1000004 00BA2510
	v_cmp_u_f32_e64 s[46:47], v95, v95                         // 000000006050: D048002E 0002BF5F
	v_add3_u32 v16, v95, v19, 1                                // 000000006058: D1FF0010 0206275F
	v_cndmask_b32_e64 v5, v16, v18, s[46:47]                   // 000000006060: D1000005 00BA2510
	v_perm_b32 v79, v5, v4, s52                                // 000000006068: D1ED004F 00D20905
	v_cmp_u_f32_e64 s[46:47], v96, v96                         // 000000006070: D048002E 0002C160
	v_add3_u32 v16, v96, v19, 1                                // 000000006078: D1FF0010 02062760
	v_cndmask_b32_e64 v4, v16, v18, s[46:47]                   // 000000006080: D1000004 00BA2510
	v_cmp_u_f32_e64 s[46:47], v97, v97                         // 000000006088: D048002E 0002C361
	v_add3_u32 v16, v97, v19, 1                                // 000000006090: D1FF0010 02062761
	v_cndmask_b32_e64 v5, v16, v18, s[46:47]                   // 000000006098: D1000005 00BA2510
	v_perm_b32 v80, v5, v4, s52                                // 0000000060A0: D1ED0050 00D20905
	v_cmp_u_f32_e64 s[46:47], v98, v98                         // 0000000060A8: D048002E 0002C562
	v_add3_u32 v16, v98, v19, 1                                // 0000000060B0: D1FF0010 02062762
	v_cndmask_b32_e64 v4, v16, v18, s[46:47]                   // 0000000060B8: D1000004 00BA2510
	v_cmp_u_f32_e64 s[46:47], v99, v99                         // 0000000060C0: D048002E 0002C763
	v_add3_u32 v16, v99, v19, 1                                // 0000000060C8: D1FF0010 02062763
	v_cndmask_b32_e64 v5, v16, v18, s[46:47]                   // 0000000060D0: D1000005 00BA2510
	v_perm_b32 v81, v5, v4, s52                                // 0000000060D8: D1ED0051 00D20905
	v_cmp_u_f32_e64 s[46:47], v100, v100                       // 0000000060E0: D048002E 0002C964
	v_add3_u32 v16, v100, v19, 1                               // 0000000060E8: D1FF0010 02062764
	v_cndmask_b32_e64 v4, v16, v18, s[46:47]                   // 0000000060F0: D1000004 00BA2510
	v_cmp_u_f32_e64 s[46:47], v101, v101                       // 0000000060F8: D048002E 0002CB65
	v_add3_u32 v16, v101, v19, 1                               // 000000006100: D1FF0010 02062765
	v_cndmask_b32_e64 v5, v16, v18, s[46:47]                   // 000000006108: D1000005 00BA2510
	v_perm_b32 v82, v5, v4, s52                                // 000000006110: D1ED0052 00D20905
	v_cmp_u_f32_e64 s[46:47], v102, v102                       // 000000006118: D048002E 0002CD66
	v_add3_u32 v16, v102, v19, 1                               // 000000006120: D1FF0010 02062766
	v_cndmask_b32_e64 v4, v16, v18, s[46:47]                   // 000000006128: D1000004 00BA2510
	v_cmp_u_f32_e64 s[46:47], v103, v103                       // 000000006130: D048002E 0002CF67
	v_add3_u32 v16, v103, v19, 1                               // 000000006138: D1FF0010 02062767
	v_cndmask_b32_e64 v5, v16, v18, s[46:47]                   // 000000006140: D1000005 00BA2510
	v_perm_b32 v83, v5, v4, s52                                // 000000006148: D1ED0053 00D20905
	ds_write_b64 v20, v[64:65]                                 // 000000006150: D89A0000 00004014
	ds_write_b64 v20, v[66:67] offset:4352                     // 000000006158: D89A1100 00004214
	ds_write_b64 v20, v[68:69] offset:8704                     // 000000006160: D89A2200 00004414
	ds_write_b64 v20, v[70:71] offset:13056                    // 000000006168: D89A3300 00004614
	ds_write_b64 v20, v[72:73] offset:17408                    // 000000006170: D89A4400 00004814
	ds_write_b64 v20, v[74:75] offset:2176                     // 000000006178: D89A0880 00004A14
	ds_write_b64 v20, v[76:77] offset:6528                     // 000000006180: D89A1980 00004C14
	ds_write_b64 v20, v[78:79] offset:10880                    // 000000006188: D89A2A80 00004E14
	ds_write_b64 v20, v[80:81] offset:15232                    // 000000006190: D89A3B80 00005014
	ds_write_b64 v20, v[82:83] offset:19584                    // 000000006198: D89A4C80 00005214
	v_lshrrev_b32_e32 v4, 5, v0                                // 0000000061A0: 20080085
	v_xor_b32_e32 v5, 1, v4                                    // 0000000061A4: 2A0A0881
	s_mul_i32 s60, s65, 2                                      // 0000000061A8: 923C8241
	s_cmp_eq_u32 s88, 0                                        // 0000000061AC: BF068058
	s_cselect_b32 s61, 1, 4                                    // 0000000061B0: 853D8481
	s_mul_i32 s60, s61, s60                                    // 0000000061B4: 923C3C3D
	v_readlane_b32 s82, v3, 0                                  // 0000000061B8: D2890052 00010103
	s_lshr_b32 s61, s82, 24                                    // 0000000061C0: 8F3D9852
	s_and_b32 s82, s82, 0xffffff                               // 0000000061C4: 8652FF52 00FFFFFF
	s_mul_i32 s82, s82, s71                                    // 0000000061CC: 92524752
	s_mul_i32 s61, s60, s61                                    // 0000000061D0: 923D3D3C
	s_add_u32 s82, s82, s61                                    // 0000000061D4: 80523D52
	v_mul_lo_u32 v6, v5, s82                                   // 0000000061D8: D2850006 0000A505
	v_readlane_b32 s82, v3, 1                                  // 0000000061E0: D2890052 00010303
	s_lshr_b32 s61, s82, 24                                    // 0000000061E8: 8F3D9852
	s_and_b32 s82, s82, 0xffffff                               // 0000000061EC: 8652FF52 00FFFFFF
	s_mul_i32 s82, s82, s71                                    // 0000000061F4: 92524752
	s_mul_i32 s61, s60, s61                                    // 0000000061F8: 923D3D3C
	s_add_u32 s82, s82, s61                                    // 0000000061FC: 80523D52
	v_mul_lo_u32 v7, v4, s82                                   // 000000006200: D2850007 0000A504
	v_add_u32_e32 v50, v6, v7                                  // 000000006208: 68640F06
	v_readlane_b32 s82, v3, 2                                  // 00000000620C: D2890052 00010503
	s_lshr_b32 s61, s82, 24                                    // 000000006214: 8F3D9852
	s_and_b32 s82, s82, 0xffffff                               // 000000006218: 8652FF52 00FFFFFF
	s_mul_i32 s82, s82, s71                                    // 000000006220: 92524752
	s_mul_i32 s61, s60, s61                                    // 000000006224: 923D3D3C
	s_add_u32 s82, s82, s61                                    // 000000006228: 80523D52
	v_mul_lo_u32 v6, v5, s82                                   // 00000000622C: D2850006 0000A505
	v_readlane_b32 s82, v3, 3                                  // 000000006234: D2890052 00010703
	s_lshr_b32 s61, s82, 24                                    // 00000000623C: 8F3D9852
	s_and_b32 s82, s82, 0xffffff                               // 000000006240: 8652FF52 00FFFFFF
	s_mul_i32 s82, s82, s71                                    // 000000006248: 92524752
	s_mul_i32 s61, s60, s61                                    // 00000000624C: 923D3D3C
	s_add_u32 s82, s82, s61                                    // 000000006250: 80523D52
	v_mul_lo_u32 v7, v4, s82                                   // 000000006254: D2850007 0000A504
	v_add_u32_e32 v51, v6, v7                                  // 00000000625C: 68660F06
	v_readlane_b32 s82, v3, 4                                  // 000000006260: D2890052 00010903
	s_lshr_b32 s61, s82, 24                                    // 000000006268: 8F3D9852
	s_and_b32 s82, s82, 0xffffff                               // 00000000626C: 8652FF52 00FFFFFF
	s_mul_i32 s82, s82, s71                                    // 000000006274: 92524752
	s_mul_i32 s61, s60, s61                                    // 000000006278: 923D3D3C
	s_add_u32 s82, s82, s61                                    // 00000000627C: 80523D52
	v_mul_lo_u32 v6, v5, s82                                   // 000000006280: D2850006 0000A505
	v_readlane_b32 s82, v3, 5                                  // 000000006288: D2890052 00010B03
	s_lshr_b32 s61, s82, 24                                    // 000000006290: 8F3D9852
	s_and_b32 s82, s82, 0xffffff                               // 000000006294: 8652FF52 00FFFFFF
	s_mul_i32 s82, s82, s71                                    // 00000000629C: 92524752
	s_mul_i32 s61, s60, s61                                    // 0000000062A0: 923D3D3C
	s_add_u32 s82, s82, s61                                    // 0000000062A4: 80523D52
	v_mul_lo_u32 v7, v4, s82                                   // 0000000062A8: D2850007 0000A504
	v_add_u32_e32 v52, v6, v7                                  // 0000000062B0: 68680F06
	v_readlane_b32 s82, v3, 6                                  // 0000000062B4: D2890052 00010D03
	s_lshr_b32 s61, s82, 24                                    // 0000000062BC: 8F3D9852
	s_and_b32 s82, s82, 0xffffff                               // 0000000062C0: 8652FF52 00FFFFFF
	s_mul_i32 s82, s82, s71                                    // 0000000062C8: 92524752
	s_mul_i32 s61, s60, s61                                    // 0000000062CC: 923D3D3C
	s_add_u32 s82, s82, s61                                    // 0000000062D0: 80523D52
	v_mul_lo_u32 v6, v5, s82                                   // 0000000062D4: D2850006 0000A505
	v_readlane_b32 s82, v3, 7                                  // 0000000062DC: D2890052 00010F03
	s_lshr_b32 s61, s82, 24                                    // 0000000062E4: 8F3D9852
	s_and_b32 s82, s82, 0xffffff                               // 0000000062E8: 8652FF52 00FFFFFF
	s_mul_i32 s82, s82, s71                                    // 0000000062F0: 92524752
	s_mul_i32 s61, s60, s61                                    // 0000000062F4: 923D3D3C
	s_add_u32 s82, s82, s61                                    // 0000000062F8: 80523D52
	v_mul_lo_u32 v7, v4, s82                                   // 0000000062FC: D2850007 0000A504
	v_add_u32_e32 v53, v6, v7                                  // 000000006304: 686A0F06
	v_readlane_b32 s82, v3, 8                                  // 000000006308: D2890052 00011103
	s_lshr_b32 s61, s82, 24                                    // 000000006310: 8F3D9852
	s_and_b32 s82, s82, 0xffffff                               // 000000006314: 8652FF52 00FFFFFF
	s_mul_i32 s82, s82, s71                                    // 00000000631C: 92524752
	s_mul_i32 s61, s60, s61                                    // 000000006320: 923D3D3C
	s_add_u32 s82, s82, s61                                    // 000000006324: 80523D52
	v_mul_lo_u32 v6, v5, s82                                   // 000000006328: D2850006 0000A505
	v_readlane_b32 s82, v3, 9                                  // 000000006330: D2890052 00011303
	s_lshr_b32 s61, s82, 24                                    // 000000006338: 8F3D9852
	s_and_b32 s82, s82, 0xffffff                               // 00000000633C: 8652FF52 00FFFFFF
	s_mul_i32 s82, s82, s71                                    // 000000006344: 92524752
	s_mul_i32 s61, s60, s61                                    // 000000006348: 923D3D3C
	s_add_u32 s82, s82, s61                                    // 00000000634C: 80523D52
	v_mul_lo_u32 v7, v4, s82                                   // 000000006350: D2850007 0000A504
	v_add_u32_e32 v54, v6, v7                                  // 000000006358: 686C0F06
	v_readlane_b32 s82, v3, 10                                 // 00000000635C: D2890052 00011503
	s_lshr_b32 s61, s82, 24                                    // 000000006364: 8F3D9852
	s_and_b32 s82, s82, 0xffffff                               // 000000006368: 8652FF52 00FFFFFF
	s_mul_i32 s82, s82, s71                                    // 000000006370: 92524752
	s_mul_i32 s61, s60, s61                                    // 000000006374: 923D3D3C
	s_add_u32 s82, s82, s61                                    // 000000006378: 80523D52
	v_mul_lo_u32 v6, v5, s82                                   // 00000000637C: D2850006 0000A505
	v_readlane_b32 s82, v3, 11                                 // 000000006384: D2890052 00011703
	s_lshr_b32 s61, s82, 24                                    // 00000000638C: 8F3D9852
	s_and_b32 s82, s82, 0xffffff                               // 000000006390: 8652FF52 00FFFFFF
	s_mul_i32 s82, s82, s71                                    // 000000006398: 92524752
	s_mul_i32 s61, s60, s61                                    // 00000000639C: 923D3D3C
	s_add_u32 s82, s82, s61                                    // 0000000063A0: 80523D52
	v_mul_lo_u32 v7, v4, s82                                   // 0000000063A4: D2850007 0000A504
	v_add_u32_e32 v55, v6, v7                                  // 0000000063AC: 686E0F06
	v_readlane_b32 s82, v3, 12                                 // 0000000063B0: D2890052 00011903
	s_lshr_b32 s61, s82, 24                                    // 0000000063B8: 8F3D9852
	s_and_b32 s82, s82, 0xffffff                               // 0000000063BC: 8652FF52 00FFFFFF
	s_mul_i32 s82, s82, s71                                    // 0000000063C4: 92524752
	s_mul_i32 s61, s60, s61                                    // 0000000063C8: 923D3D3C
	s_add_u32 s82, s82, s61                                    // 0000000063CC: 80523D52
	v_mul_lo_u32 v6, v5, s82                                   // 0000000063D0: D2850006 0000A505
	v_readlane_b32 s82, v3, 13                                 // 0000000063D8: D2890052 00011B03
	s_lshr_b32 s61, s82, 24                                    // 0000000063E0: 8F3D9852
	s_and_b32 s82, s82, 0xffffff                               // 0000000063E4: 8652FF52 00FFFFFF
	s_mul_i32 s82, s82, s71                                    // 0000000063EC: 92524752
	s_mul_i32 s61, s60, s61                                    // 0000000063F0: 923D3D3C
	s_add_u32 s82, s82, s61                                    // 0000000063F4: 80523D52
	v_mul_lo_u32 v7, v4, s82                                   // 0000000063F8: D2850007 0000A504
	v_add_u32_e32 v56, v6, v7                                  // 000000006400: 68700F06
	v_readlane_b32 s82, v3, 14                                 // 000000006404: D2890052 00011D03
	s_lshr_b32 s61, s82, 24                                    // 00000000640C: 8F3D9852
	s_and_b32 s82, s82, 0xffffff                               // 000000006410: 8652FF52 00FFFFFF
	s_mul_i32 s82, s82, s71                                    // 000000006418: 92524752
	s_mul_i32 s61, s60, s61                                    // 00000000641C: 923D3D3C
	s_add_u32 s82, s82, s61                                    // 000000006420: 80523D52
	v_mul_lo_u32 v6, v5, s82                                   // 000000006424: D2850006 0000A505
	v_readlane_b32 s82, v3, 15                                 // 00000000642C: D2890052 00011F03
	s_lshr_b32 s61, s82, 24                                    // 000000006434: 8F3D9852
	s_and_b32 s82, s82, 0xffffff                               // 000000006438: 8652FF52 00FFFFFF
	s_mul_i32 s82, s82, s71                                    // 000000006440: 92524752
	s_mul_i32 s61, s60, s61                                    // 000000006444: 923D3D3C
	s_add_u32 s82, s82, s61                                    // 000000006448: 80523D52
	v_mul_lo_u32 v7, v4, s82                                   // 00000000644C: D2850007 0000A504
	v_add_u32_e32 v57, v6, v7                                  // 000000006454: 68720F06
	v_readlane_b32 s82, v3, 16                                 // 000000006458: D2890052 00012103
	s_lshr_b32 s61, s82, 24                                    // 000000006460: 8F3D9852
	s_and_b32 s82, s82, 0xffffff                               // 000000006464: 8652FF52 00FFFFFF
	s_mul_i32 s82, s82, s71                                    // 00000000646C: 92524752
	s_mul_i32 s61, s60, s61                                    // 000000006470: 923D3D3C
	s_add_u32 s82, s82, s61                                    // 000000006474: 80523D52
	v_mul_lo_u32 v6, v5, s82                                   // 000000006478: D2850006 0000A505
	v_readlane_b32 s82, v3, 17                                 // 000000006480: D2890052 00012303
	s_lshr_b32 s61, s82, 24                                    // 000000006488: 8F3D9852
	s_and_b32 s82, s82, 0xffffff                               // 00000000648C: 8652FF52 00FFFFFF
	s_mul_i32 s82, s82, s71                                    // 000000006494: 92524752
	s_mul_i32 s61, s60, s61                                    // 000000006498: 923D3D3C
	s_add_u32 s82, s82, s61                                    // 00000000649C: 80523D52
	v_mul_lo_u32 v7, v4, s82                                   // 0000000064A0: D2850007 0000A504
	v_add_u32_e32 v58, v6, v7                                  // 0000000064A8: 68740F06
	v_readlane_b32 s82, v3, 18                                 // 0000000064AC: D2890052 00012503
	s_lshr_b32 s61, s82, 24                                    // 0000000064B4: 8F3D9852
	s_and_b32 s82, s82, 0xffffff                               // 0000000064B8: 8652FF52 00FFFFFF
	s_mul_i32 s82, s82, s71                                    // 0000000064C0: 92524752
	s_mul_i32 s61, s60, s61                                    // 0000000064C4: 923D3D3C
	s_add_u32 s82, s82, s61                                    // 0000000064C8: 80523D52
	v_mul_lo_u32 v6, v5, s82                                   // 0000000064CC: D2850006 0000A505
	v_readlane_b32 s82, v3, 19                                 // 0000000064D4: D2890052 00012703
	s_lshr_b32 s61, s82, 24                                    // 0000000064DC: 8F3D9852
	s_and_b32 s82, s82, 0xffffff                               // 0000000064E0: 8652FF52 00FFFFFF
	s_mul_i32 s82, s82, s71                                    // 0000000064E8: 92524752
	s_mul_i32 s61, s60, s61                                    // 0000000064EC: 923D3D3C
	s_add_u32 s82, s82, s61                                    // 0000000064F0: 80523D52
	v_mul_lo_u32 v7, v4, s82                                   // 0000000064F4: D2850007 0000A504
	v_add_u32_e32 v59, v6, v7                                  // 0000000064FC: 68760F06
	v_and_b32_e32 v4, 31, v0                                   // 000000006500: 2608009F
	v_lshrrev_b32_e32 v4, 1, v4                                // 000000006504: 20080881
	s_cmp_eq_u32 s88, 0                                        // 000000006508: BF068058
	s_cselect_b32 s61, 2, 4                                    // 00000000650C: 853D8482
	v_mul_lo_u32 v4, v4, s61                                   // 000000006510: D2850004 00007B04
	v_and_b32_e64 v5, v0, 1                                    // 000000006518: D1130005 00010300
	v_add_u32_e32 v4, v4, v5                                   // 000000006520: 68080B04
	v_lshlrev_b32_e32 v4, 2, v4                                // 000000006524: 24080882
	v_add_u32_e32 v50, v50, v4                                 // 000000006528: 68640932
	v_add_u32_e32 v51, v51, v4                                 // 00000000652C: 68660933
	v_add_u32_e32 v52, v52, v4                                 // 000000006530: 68680934
	v_add_u32_e32 v53, v53, v4                                 // 000000006534: 686A0935
	v_add_u32_e32 v54, v54, v4                                 // 000000006538: 686C0936
	v_add_u32_e32 v55, v55, v4                                 // 00000000653C: 686E0937
	v_add_u32_e32 v56, v56, v4                                 // 000000006540: 68700938
	v_add_u32_e32 v57, v57, v4                                 // 000000006544: 68720939
	v_add_u32_e32 v58, v58, v4                                 // 000000006548: 6874093A
	v_add_u32_e32 v59, v59, v4                                 // 00000000654C: 6876093B
	s_waitcnt lgkmcnt(0)                                       // 000000006550: BF8CC07F
	s_barrier                                                  // 000000006554: BF8A0000
	ds_read_b32 v64, v21                                       // 000000006558: D86C0000 40000015
	ds_read_b32 v65, v21 offset:64                             // 000000006560: D86C0040 41000015
	ds_read_b32 v66, v21 offset:2176                           // 000000006568: D86C0880 42000015
	ds_read_b32 v67, v21 offset:2240                           // 000000006570: D86C08C0 43000015
	ds_read_b32 v68, v21 offset:4352                           // 000000006578: D86C1100 44000015
	ds_read_b32 v69, v21 offset:4416                           // 000000006580: D86C1140 45000015
	ds_read_b32 v70, v21 offset:6528                           // 000000006588: D86C1980 46000015
	ds_read_b32 v71, v21 offset:6592                           // 000000006590: D86C19C0 47000015
	ds_read_b32 v72, v21 offset:8704                           // 000000006598: D86C2200 48000015
	ds_read_b32 v73, v21 offset:8768                           // 0000000065A0: D86C2240 49000015
	ds_read_b32 v74, v21 offset:10880                          // 0000000065A8: D86C2A80 4A000015
	ds_read_b32 v75, v21 offset:10944                          // 0000000065B0: D86C2AC0 4B000015
	ds_read_b32 v76, v21 offset:13056                          // 0000000065B8: D86C3300 4C000015
	ds_read_b32 v77, v21 offset:13120                          // 0000000065C0: D86C3340 4D000015
	ds_read_b32 v78, v21 offset:15232                          // 0000000065C8: D86C3B80 4E000015
	ds_read_b32 v79, v21 offset:15296                          // 0000000065D0: D86C3BC0 4F000015
	ds_read_b32 v80, v21 offset:17408                          // 0000000065D8: D86C4400 50000015
	ds_read_b32 v81, v21 offset:17472                          // 0000000065E0: D86C4440 51000015
	ds_read_b32 v82, v21 offset:19584                          // 0000000065E8: D86C4C80 52000015
	ds_read_b32 v83, v21 offset:19648                          // 0000000065F0: D86C4CC0 53000015
	s_waitcnt lgkmcnt(0)                                       // 0000000065F8: BF8CC07F
	s_mov_b32 s36, -1                                          // 0000000065FC: BEA400C1
	s_mov_b32 s37, -1                                          // 000000006600: BEA500C1
	v_mov_b32_e32 v7, 0                                        // 000000006604: 7E0E0280
	s_or_b32 s9, s9, 0x40000                                   // 000000006608: 8709FF09 00040000
	s_mov_b64 exec, s[36:37]                                   // 000000006610: BEFE0124
	v_mov_b32_e32 v6, v50                                      // 000000006614: 7E0C0332
	s_mov_b64 s[60:61], 0                                      // 000000006618: BEBC0180
	v_readlane_b32 s82, v3, 0                                  // 00000000661C: D2890052 00010103
	s_and_b32 s82, s82, 0xffffff                               // 000000006624: 8652FF52 00FFFFFF
	s_cmp_lt_u32 s82, s66                                      // 00000000662C: BF0A4252
	s_cselect_b32 s20, s36, s60                                // 000000006630: 85143C24
	v_readlane_b32 s82, v3, 1                                  // 000000006634: D2890052 00010303
	s_and_b32 s82, s82, 0xffffff                               // 00000000663C: 8652FF52 00FFFFFF
	s_cmp_lt_u32 s82, s66                                      // 000000006644: BF0A4252
	s_cselect_b32 s21, s36, s60                                // 000000006648: 85153C24
	s_mov_b64 exec, s[20:21]                                   // 00000000664C: BEFE0114
	buffer_store_dword v64, v6, s[8:11], 0 offen               // 000000006650: E0701000 80024006
	buffer_store_dword v66, v6, s[8:11], 0 offen offset:128    // 000000006658: E0701080 80024206
	s_mov_b64 exec, s[36:37]                                   // 000000006660: BEFE0124
	v_mov_b32_e32 v6, v51                                      // 000000006664: 7E0C0333
	s_mov_b64 s[60:61], 0                                      // 000000006668: BEBC0180
	v_readlane_b32 s82, v3, 2                                  // 00000000666C: D2890052 00010503
	s_and_b32 s82, s82, 0xffffff                               // 000000006674: 8652FF52 00FFFFFF
	s_cmp_lt_u32 s82, s66                                      // 00000000667C: BF0A4252
	s_cselect_b32 s20, s36, s60                                // 000000006680: 85143C24
	v_readlane_b32 s82, v3, 3                                  // 000000006684: D2890052 00010703
	s_and_b32 s82, s82, 0xffffff                               // 00000000668C: 8652FF52 00FFFFFF
	s_cmp_lt_u32 s82, s66                                      // 000000006694: BF0A4252
	s_cselect_b32 s21, s36, s60                                // 000000006698: 85153C24
	s_mov_b64 exec, s[20:21]                                   // 00000000669C: BEFE0114
	buffer_store_dword v65, v6, s[8:11], 0 offen               // 0000000066A0: E0701000 80024106
	buffer_store_dword v67, v6, s[8:11], 0 offen offset:128    // 0000000066A8: E0701080 80024306
	s_mov_b64 exec, s[36:37]                                   // 0000000066B0: BEFE0124
	v_mov_b32_e32 v6, v52                                      // 0000000066B4: 7E0C0334
	s_mov_b64 s[60:61], 0                                      // 0000000066B8: BEBC0180
	v_readlane_b32 s82, v3, 4                                  // 0000000066BC: D2890052 00010903
	s_and_b32 s82, s82, 0xffffff                               // 0000000066C4: 8652FF52 00FFFFFF
	s_cmp_lt_u32 s82, s66                                      // 0000000066CC: BF0A4252
	s_cselect_b32 s20, s36, s60                                // 0000000066D0: 85143C24
	v_readlane_b32 s82, v3, 5                                  // 0000000066D4: D2890052 00010B03
	s_and_b32 s82, s82, 0xffffff                               // 0000000066DC: 8652FF52 00FFFFFF
	s_cmp_lt_u32 s82, s66                                      // 0000000066E4: BF0A4252
	s_cselect_b32 s21, s36, s60                                // 0000000066E8: 85153C24
	s_mov_b64 exec, s[20:21]                                   // 0000000066EC: BEFE0114
	buffer_store_dword v68, v6, s[8:11], 0 offen               // 0000000066F0: E0701000 80024406
	buffer_store_dword v70, v6, s[8:11], 0 offen offset:128    // 0000000066F8: E0701080 80024606
	s_mov_b64 exec, s[36:37]                                   // 000000006700: BEFE0124
	v_mov_b32_e32 v6, v53                                      // 000000006704: 7E0C0335
	s_mov_b64 s[60:61], 0                                      // 000000006708: BEBC0180
	v_readlane_b32 s82, v3, 6                                  // 00000000670C: D2890052 00010D03
	s_and_b32 s82, s82, 0xffffff                               // 000000006714: 8652FF52 00FFFFFF
	s_cmp_lt_u32 s82, s66                                      // 00000000671C: BF0A4252
	s_cselect_b32 s20, s36, s60                                // 000000006720: 85143C24
	v_readlane_b32 s82, v3, 7                                  // 000000006724: D2890052 00010F03
	s_and_b32 s82, s82, 0xffffff                               // 00000000672C: 8652FF52 00FFFFFF
	s_cmp_lt_u32 s82, s66                                      // 000000006734: BF0A4252
	s_cselect_b32 s21, s36, s60                                // 000000006738: 85153C24
	s_mov_b64 exec, s[20:21]                                   // 00000000673C: BEFE0114
	buffer_store_dword v69, v6, s[8:11], 0 offen               // 000000006740: E0701000 80024506
	buffer_store_dword v71, v6, s[8:11], 0 offen offset:128    // 000000006748: E0701080 80024706
	s_mov_b64 exec, s[36:37]                                   // 000000006750: BEFE0124
	v_mov_b32_e32 v6, v54                                      // 000000006754: 7E0C0336
	s_mov_b64 s[60:61], 0                                      // 000000006758: BEBC0180
	v_readlane_b32 s82, v3, 8                                  // 00000000675C: D2890052 00011103
	s_and_b32 s82, s82, 0xffffff                               // 000000006764: 8652FF52 00FFFFFF
	s_cmp_lt_u32 s82, s66                                      // 00000000676C: BF0A4252
	s_cselect_b32 s20, s36, s60                                // 000000006770: 85143C24
	v_readlane_b32 s82, v3, 9                                  // 000000006774: D2890052 00011303
	s_and_b32 s82, s82, 0xffffff                               // 00000000677C: 8652FF52 00FFFFFF
	s_cmp_lt_u32 s82, s66                                      // 000000006784: BF0A4252
	s_cselect_b32 s21, s36, s60                                // 000000006788: 85153C24
	s_mov_b64 exec, s[20:21]                                   // 00000000678C: BEFE0114
	buffer_store_dword v72, v6, s[8:11], 0 offen               // 000000006790: E0701000 80024806
	buffer_store_dword v74, v6, s[8:11], 0 offen offset:128    // 000000006798: E0701080 80024A06
	s_mov_b64 exec, s[36:37]                                   // 0000000067A0: BEFE0124
	v_mov_b32_e32 v6, v55                                      // 0000000067A4: 7E0C0337
	s_mov_b64 s[60:61], 0                                      // 0000000067A8: BEBC0180
	v_readlane_b32 s82, v3, 10                                 // 0000000067AC: D2890052 00011503
	s_and_b32 s82, s82, 0xffffff                               // 0000000067B4: 8652FF52 00FFFFFF
	s_cmp_lt_u32 s82, s66                                      // 0000000067BC: BF0A4252
	s_cselect_b32 s20, s36, s60                                // 0000000067C0: 85143C24
	v_readlane_b32 s82, v3, 11                                 // 0000000067C4: D2890052 00011703
	s_and_b32 s82, s82, 0xffffff                               // 0000000067CC: 8652FF52 00FFFFFF
	s_cmp_lt_u32 s82, s66                                      // 0000000067D4: BF0A4252
	s_cselect_b32 s21, s36, s60                                // 0000000067D8: 85153C24
	s_mov_b64 exec, s[20:21]                                   // 0000000067DC: BEFE0114
	buffer_store_dword v73, v6, s[8:11], 0 offen               // 0000000067E0: E0701000 80024906
	buffer_store_dword v75, v6, s[8:11], 0 offen offset:128    // 0000000067E8: E0701080 80024B06
	s_mov_b64 exec, s[36:37]                                   // 0000000067F0: BEFE0124
	v_mov_b32_e32 v6, v56                                      // 0000000067F4: 7E0C0338
	s_mov_b64 s[60:61], 0                                      // 0000000067F8: BEBC0180
	v_readlane_b32 s82, v3, 12                                 // 0000000067FC: D2890052 00011903
	s_and_b32 s82, s82, 0xffffff                               // 000000006804: 8652FF52 00FFFFFF
	s_cmp_lt_u32 s82, s66                                      // 00000000680C: BF0A4252
	s_cselect_b32 s20, s36, s60                                // 000000006810: 85143C24
	v_readlane_b32 s82, v3, 13                                 // 000000006814: D2890052 00011B03
	s_and_b32 s82, s82, 0xffffff                               // 00000000681C: 8652FF52 00FFFFFF
	s_cmp_lt_u32 s82, s66                                      // 000000006824: BF0A4252
	s_cselect_b32 s21, s36, s60                                // 000000006828: 85153C24
	s_mov_b64 exec, s[20:21]                                   // 00000000682C: BEFE0114
	buffer_store_dword v76, v6, s[8:11], 0 offen               // 000000006830: E0701000 80024C06
	buffer_store_dword v78, v6, s[8:11], 0 offen offset:128    // 000000006838: E0701080 80024E06
	s_mov_b64 exec, s[36:37]                                   // 000000006840: BEFE0124
	v_mov_b32_e32 v6, v57                                      // 000000006844: 7E0C0339
	s_mov_b64 s[60:61], 0                                      // 000000006848: BEBC0180
	v_readlane_b32 s82, v3, 14                                 // 00000000684C: D2890052 00011D03
	s_and_b32 s82, s82, 0xffffff                               // 000000006854: 8652FF52 00FFFFFF
	s_cmp_lt_u32 s82, s66                                      // 00000000685C: BF0A4252
	s_cselect_b32 s20, s36, s60                                // 000000006860: 85143C24
	v_readlane_b32 s82, v3, 15                                 // 000000006864: D2890052 00011F03
	s_and_b32 s82, s82, 0xffffff                               // 00000000686C: 8652FF52 00FFFFFF
	s_cmp_lt_u32 s82, s66                                      // 000000006874: BF0A4252
	s_cselect_b32 s21, s36, s60                                // 000000006878: 85153C24
	s_mov_b64 exec, s[20:21]                                   // 00000000687C: BEFE0114
	buffer_store_dword v77, v6, s[8:11], 0 offen               // 000000006880: E0701000 80024D06
	buffer_store_dword v79, v6, s[8:11], 0 offen offset:128    // 000000006888: E0701080 80024F06
	s_mov_b64 exec, s[36:37]                                   // 000000006890: BEFE0124
	v_mov_b32_e32 v6, v58                                      // 000000006894: 7E0C033A
	s_mov_b64 s[60:61], 0                                      // 000000006898: BEBC0180
	v_readlane_b32 s82, v3, 16                                 // 00000000689C: D2890052 00012103
	s_and_b32 s82, s82, 0xffffff                               // 0000000068A4: 8652FF52 00FFFFFF
	s_cmp_lt_u32 s82, s66                                      // 0000000068AC: BF0A4252
	s_cselect_b32 s20, s36, s60                                // 0000000068B0: 85143C24
	v_readlane_b32 s82, v3, 17                                 // 0000000068B4: D2890052 00012303
	s_and_b32 s82, s82, 0xffffff                               // 0000000068BC: 8652FF52 00FFFFFF
	s_cmp_lt_u32 s82, s66                                      // 0000000068C4: BF0A4252
	s_cselect_b32 s21, s36, s60                                // 0000000068C8: 85153C24
	s_mov_b64 exec, s[20:21]                                   // 0000000068CC: BEFE0114
	buffer_store_dword v80, v6, s[8:11], 0 offen               // 0000000068D0: E0701000 80025006
	buffer_store_dword v82, v6, s[8:11], 0 offen offset:128    // 0000000068D8: E0701080 80025206
	s_mov_b64 exec, s[36:37]                                   // 0000000068E0: BEFE0124
	v_mov_b32_e32 v6, v59                                      // 0000000068E4: 7E0C033B
	s_mov_b64 s[60:61], 0                                      // 0000000068E8: BEBC0180
	v_readlane_b32 s82, v3, 18                                 // 0000000068EC: D2890052 00012503
	s_and_b32 s82, s82, 0xffffff                               // 0000000068F4: 8652FF52 00FFFFFF
	s_cmp_lt_u32 s82, s66                                      // 0000000068FC: BF0A4252
	s_cselect_b32 s20, s36, s60                                // 000000006900: 85143C24
	v_readlane_b32 s82, v3, 19                                 // 000000006904: D2890052 00012703
	s_and_b32 s82, s82, 0xffffff                               // 00000000690C: 8652FF52 00FFFFFF
	s_cmp_lt_u32 s82, s66                                      // 000000006914: BF0A4252
	s_cselect_b32 s21, s36, s60                                // 000000006918: 85153C24
	s_mov_b64 exec, s[20:21]                                   // 00000000691C: BEFE0114
	buffer_store_dword v81, v6, s[8:11], 0 offen               // 000000006920: E0701000 80025106
	buffer_store_dword v83, v6, s[8:11], 0 offen offset:128    // 000000006928: E0701080 80025306
	s_mov_b64 exec, s[36:37]                                   // 000000006930: BEFE0124
	s_branch label_26FA                                        // 000000006934: BF821729

0000000000006938 <label_0FCE>:
	ds_write_b64 v20, v[64:65]                                 // 000000006938: D89A0000 00004014
	ds_write_b64 v20, v[68:69] offset:4352                     // 000000006940: D89A1100 00004414
	ds_write_b64 v20, v[72:73] offset:8704                     // 000000006948: D89A2200 00004814
	ds_write_b64 v20, v[76:77] offset:13056                    // 000000006950: D89A3300 00004C14
	ds_write_b64 v20, v[80:81] offset:17408                    // 000000006958: D89A4400 00005014
	ds_write_b64 v20, v[84:85] offset:2176                     // 000000006960: D89A0880 00005414
	ds_write_b64 v20, v[88:89] offset:6528                     // 000000006968: D89A1980 00005814
	ds_write_b64 v20, v[92:93] offset:10880                    // 000000006970: D89A2A80 00005C14
	ds_write_b64 v20, v[96:97] offset:15232                    // 000000006978: D89A3B80 00006014
	ds_write_b64 v20, v[100:101] offset:19584                  // 000000006980: D89A4C80 00006414
	v_lshrrev_b32_e32 v4, 5, v0                                // 000000006988: 20080085
	v_xor_b32_e32 v5, 1, v4                                    // 00000000698C: 2A0A0881
	s_mul_i32 s60, s65, 2                                      // 000000006990: 923C8241
	s_cmp_eq_u32 s88, 0                                        // 000000006994: BF068058
	s_cselect_b32 s61, 1, 4                                    // 000000006998: 853D8481
	s_mul_i32 s60, s61, s60                                    // 00000000699C: 923C3C3D
	v_readlane_b32 s82, v3, 0                                  // 0000000069A0: D2890052 00010103
	s_lshr_b32 s61, s82, 24                                    // 0000000069A8: 8F3D9852
	s_and_b32 s82, s82, 0xffffff                               // 0000000069AC: 8652FF52 00FFFFFF
	s_mul_i32 s82, s82, s71                                    // 0000000069B4: 92524752
	s_mul_i32 s61, s60, s61                                    // 0000000069B8: 923D3D3C
	s_add_u32 s82, s82, s61                                    // 0000000069BC: 80523D52
	v_mul_lo_u32 v6, v5, s82                                   // 0000000069C0: D2850006 0000A505
	v_readlane_b32 s82, v3, 1                                  // 0000000069C8: D2890052 00010303
	s_lshr_b32 s61, s82, 24                                    // 0000000069D0: 8F3D9852
	s_and_b32 s82, s82, 0xffffff                               // 0000000069D4: 8652FF52 00FFFFFF
	s_mul_i32 s82, s82, s71                                    // 0000000069DC: 92524752
	s_mul_i32 s61, s60, s61                                    // 0000000069E0: 923D3D3C
	s_add_u32 s82, s82, s61                                    // 0000000069E4: 80523D52
	v_mul_lo_u32 v7, v4, s82                                   // 0000000069E8: D2850007 0000A504
	v_add_u32_e32 v50, v6, v7                                  // 0000000069F0: 68640F06
	v_readlane_b32 s82, v3, 2                                  // 0000000069F4: D2890052 00010503
	s_lshr_b32 s61, s82, 24                                    // 0000000069FC: 8F3D9852
	s_and_b32 s82, s82, 0xffffff                               // 000000006A00: 8652FF52 00FFFFFF
	s_mul_i32 s82, s82, s71                                    // 000000006A08: 92524752
	s_mul_i32 s61, s60, s61                                    // 000000006A0C: 923D3D3C
	s_add_u32 s82, s82, s61                                    // 000000006A10: 80523D52
	v_mul_lo_u32 v6, v5, s82                                   // 000000006A14: D2850006 0000A505
	v_readlane_b32 s82, v3, 3                                  // 000000006A1C: D2890052 00010703
	s_lshr_b32 s61, s82, 24                                    // 000000006A24: 8F3D9852
	s_and_b32 s82, s82, 0xffffff                               // 000000006A28: 8652FF52 00FFFFFF
	s_mul_i32 s82, s82, s71                                    // 000000006A30: 92524752
	s_mul_i32 s61, s60, s61                                    // 000000006A34: 923D3D3C
	s_add_u32 s82, s82, s61                                    // 000000006A38: 80523D52
	v_mul_lo_u32 v7, v4, s82                                   // 000000006A3C: D2850007 0000A504
	v_add_u32_e32 v51, v6, v7                                  // 000000006A44: 68660F06
	v_readlane_b32 s82, v3, 4                                  // 000000006A48: D2890052 00010903
	s_lshr_b32 s61, s82, 24                                    // 000000006A50: 8F3D9852
	s_and_b32 s82, s82, 0xffffff                               // 000000006A54: 8652FF52 00FFFFFF
	s_mul_i32 s82, s82, s71                                    // 000000006A5C: 92524752
	s_mul_i32 s61, s60, s61                                    // 000000006A60: 923D3D3C
	s_add_u32 s82, s82, s61                                    // 000000006A64: 80523D52
	v_mul_lo_u32 v6, v5, s82                                   // 000000006A68: D2850006 0000A505
	v_readlane_b32 s82, v3, 5                                  // 000000006A70: D2890052 00010B03
	s_lshr_b32 s61, s82, 24                                    // 000000006A78: 8F3D9852
	s_and_b32 s82, s82, 0xffffff                               // 000000006A7C: 8652FF52 00FFFFFF
	s_mul_i32 s82, s82, s71                                    // 000000006A84: 92524752
	s_mul_i32 s61, s60, s61                                    // 000000006A88: 923D3D3C
	s_add_u32 s82, s82, s61                                    // 000000006A8C: 80523D52
	v_mul_lo_u32 v7, v4, s82                                   // 000000006A90: D2850007 0000A504
	v_add_u32_e32 v52, v6, v7                                  // 000000006A98: 68680F06
	v_readlane_b32 s82, v3, 6                                  // 000000006A9C: D2890052 00010D03
	s_lshr_b32 s61, s82, 24                                    // 000000006AA4: 8F3D9852
	s_and_b32 s82, s82, 0xffffff                               // 000000006AA8: 8652FF52 00FFFFFF
	s_mul_i32 s82, s82, s71                                    // 000000006AB0: 92524752
	s_mul_i32 s61, s60, s61                                    // 000000006AB4: 923D3D3C
	s_add_u32 s82, s82, s61                                    // 000000006AB8: 80523D52
	v_mul_lo_u32 v6, v5, s82                                   // 000000006ABC: D2850006 0000A505
	v_readlane_b32 s82, v3, 7                                  // 000000006AC4: D2890052 00010F03
	s_lshr_b32 s61, s82, 24                                    // 000000006ACC: 8F3D9852
	s_and_b32 s82, s82, 0xffffff                               // 000000006AD0: 8652FF52 00FFFFFF
	s_mul_i32 s82, s82, s71                                    // 000000006AD8: 92524752
	s_mul_i32 s61, s60, s61                                    // 000000006ADC: 923D3D3C
	s_add_u32 s82, s82, s61                                    // 000000006AE0: 80523D52
	v_mul_lo_u32 v7, v4, s82                                   // 000000006AE4: D2850007 0000A504
	v_add_u32_e32 v53, v6, v7                                  // 000000006AEC: 686A0F06
	v_readlane_b32 s82, v3, 8                                  // 000000006AF0: D2890052 00011103
	s_lshr_b32 s61, s82, 24                                    // 000000006AF8: 8F3D9852
	s_and_b32 s82, s82, 0xffffff                               // 000000006AFC: 8652FF52 00FFFFFF
	s_mul_i32 s82, s82, s71                                    // 000000006B04: 92524752
	s_mul_i32 s61, s60, s61                                    // 000000006B08: 923D3D3C
	s_add_u32 s82, s82, s61                                    // 000000006B0C: 80523D52
	v_mul_lo_u32 v6, v5, s82                                   // 000000006B10: D2850006 0000A505
	v_readlane_b32 s82, v3, 9                                  // 000000006B18: D2890052 00011303
	s_lshr_b32 s61, s82, 24                                    // 000000006B20: 8F3D9852
	s_and_b32 s82, s82, 0xffffff                               // 000000006B24: 8652FF52 00FFFFFF
	s_mul_i32 s82, s82, s71                                    // 000000006B2C: 92524752
	s_mul_i32 s61, s60, s61                                    // 000000006B30: 923D3D3C
	s_add_u32 s82, s82, s61                                    // 000000006B34: 80523D52
	v_mul_lo_u32 v7, v4, s82                                   // 000000006B38: D2850007 0000A504
	v_add_u32_e32 v54, v6, v7                                  // 000000006B40: 686C0F06
	v_readlane_b32 s82, v3, 10                                 // 000000006B44: D2890052 00011503
	s_lshr_b32 s61, s82, 24                                    // 000000006B4C: 8F3D9852
	s_and_b32 s82, s82, 0xffffff                               // 000000006B50: 8652FF52 00FFFFFF
	s_mul_i32 s82, s82, s71                                    // 000000006B58: 92524752
	s_mul_i32 s61, s60, s61                                    // 000000006B5C: 923D3D3C
	s_add_u32 s82, s82, s61                                    // 000000006B60: 80523D52
	v_mul_lo_u32 v6, v5, s82                                   // 000000006B64: D2850006 0000A505
	v_readlane_b32 s82, v3, 11                                 // 000000006B6C: D2890052 00011703
	s_lshr_b32 s61, s82, 24                                    // 000000006B74: 8F3D9852
	s_and_b32 s82, s82, 0xffffff                               // 000000006B78: 8652FF52 00FFFFFF
	s_mul_i32 s82, s82, s71                                    // 000000006B80: 92524752
	s_mul_i32 s61, s60, s61                                    // 000000006B84: 923D3D3C
	s_add_u32 s82, s82, s61                                    // 000000006B88: 80523D52
	v_mul_lo_u32 v7, v4, s82                                   // 000000006B8C: D2850007 0000A504
	v_add_u32_e32 v55, v6, v7                                  // 000000006B94: 686E0F06
	v_readlane_b32 s82, v3, 12                                 // 000000006B98: D2890052 00011903
	s_lshr_b32 s61, s82, 24                                    // 000000006BA0: 8F3D9852
	s_and_b32 s82, s82, 0xffffff                               // 000000006BA4: 8652FF52 00FFFFFF
	s_mul_i32 s82, s82, s71                                    // 000000006BAC: 92524752
	s_mul_i32 s61, s60, s61                                    // 000000006BB0: 923D3D3C
	s_add_u32 s82, s82, s61                                    // 000000006BB4: 80523D52
	v_mul_lo_u32 v6, v5, s82                                   // 000000006BB8: D2850006 0000A505
	v_readlane_b32 s82, v3, 13                                 // 000000006BC0: D2890052 00011B03
	s_lshr_b32 s61, s82, 24                                    // 000000006BC8: 8F3D9852
	s_and_b32 s82, s82, 0xffffff                               // 000000006BCC: 8652FF52 00FFFFFF
	s_mul_i32 s82, s82, s71                                    // 000000006BD4: 92524752
	s_mul_i32 s61, s60, s61                                    // 000000006BD8: 923D3D3C
	s_add_u32 s82, s82, s61                                    // 000000006BDC: 80523D52
	v_mul_lo_u32 v7, v4, s82                                   // 000000006BE0: D2850007 0000A504
	v_add_u32_e32 v56, v6, v7                                  // 000000006BE8: 68700F06
	v_readlane_b32 s82, v3, 14                                 // 000000006BEC: D2890052 00011D03
	s_lshr_b32 s61, s82, 24                                    // 000000006BF4: 8F3D9852
	s_and_b32 s82, s82, 0xffffff                               // 000000006BF8: 8652FF52 00FFFFFF
	s_mul_i32 s82, s82, s71                                    // 000000006C00: 92524752
	s_mul_i32 s61, s60, s61                                    // 000000006C04: 923D3D3C
	s_add_u32 s82, s82, s61                                    // 000000006C08: 80523D52
	v_mul_lo_u32 v6, v5, s82                                   // 000000006C0C: D2850006 0000A505
	v_readlane_b32 s82, v3, 15                                 // 000000006C14: D2890052 00011F03
	s_lshr_b32 s61, s82, 24                                    // 000000006C1C: 8F3D9852
	s_and_b32 s82, s82, 0xffffff                               // 000000006C20: 8652FF52 00FFFFFF
	s_mul_i32 s82, s82, s71                                    // 000000006C28: 92524752
	s_mul_i32 s61, s60, s61                                    // 000000006C2C: 923D3D3C
	s_add_u32 s82, s82, s61                                    // 000000006C30: 80523D52
	v_mul_lo_u32 v7, v4, s82                                   // 000000006C34: D2850007 0000A504
	v_add_u32_e32 v57, v6, v7                                  // 000000006C3C: 68720F06
	v_readlane_b32 s82, v3, 16                                 // 000000006C40: D2890052 00012103
	s_lshr_b32 s61, s82, 24                                    // 000000006C48: 8F3D9852
	s_and_b32 s82, s82, 0xffffff                               // 000000006C4C: 8652FF52 00FFFFFF
	s_mul_i32 s82, s82, s71                                    // 000000006C54: 92524752
	s_mul_i32 s61, s60, s61                                    // 000000006C58: 923D3D3C
	s_add_u32 s82, s82, s61                                    // 000000006C5C: 80523D52
	v_mul_lo_u32 v6, v5, s82                                   // 000000006C60: D2850006 0000A505
	v_readlane_b32 s82, v3, 17                                 // 000000006C68: D2890052 00012303
	s_lshr_b32 s61, s82, 24                                    // 000000006C70: 8F3D9852
	s_and_b32 s82, s82, 0xffffff                               // 000000006C74: 8652FF52 00FFFFFF
	s_mul_i32 s82, s82, s71                                    // 000000006C7C: 92524752
	s_mul_i32 s61, s60, s61                                    // 000000006C80: 923D3D3C
	s_add_u32 s82, s82, s61                                    // 000000006C84: 80523D52
	v_mul_lo_u32 v7, v4, s82                                   // 000000006C88: D2850007 0000A504
	v_add_u32_e32 v58, v6, v7                                  // 000000006C90: 68740F06
	v_readlane_b32 s82, v3, 18                                 // 000000006C94: D2890052 00012503
	s_lshr_b32 s61, s82, 24                                    // 000000006C9C: 8F3D9852
	s_and_b32 s82, s82, 0xffffff                               // 000000006CA0: 8652FF52 00FFFFFF
	s_mul_i32 s82, s82, s71                                    // 000000006CA8: 92524752
	s_mul_i32 s61, s60, s61                                    // 000000006CAC: 923D3D3C
	s_add_u32 s82, s82, s61                                    // 000000006CB0: 80523D52
	v_mul_lo_u32 v6, v5, s82                                   // 000000006CB4: D2850006 0000A505
	v_readlane_b32 s82, v3, 19                                 // 000000006CBC: D2890052 00012703
	s_lshr_b32 s61, s82, 24                                    // 000000006CC4: 8F3D9852
	s_and_b32 s82, s82, 0xffffff                               // 000000006CC8: 8652FF52 00FFFFFF
	s_mul_i32 s82, s82, s71                                    // 000000006CD0: 92524752
	s_mul_i32 s61, s60, s61                                    // 000000006CD4: 923D3D3C
	s_add_u32 s82, s82, s61                                    // 000000006CD8: 80523D52
	v_mul_lo_u32 v7, v4, s82                                   // 000000006CDC: D2850007 0000A504
	v_add_u32_e32 v59, v6, v7                                  // 000000006CE4: 68760F06
	v_and_b32_e32 v4, 31, v0                                   // 000000006CE8: 2608009F
	v_lshrrev_b32_e32 v4, 1, v4                                // 000000006CEC: 20080881
	s_cmp_eq_u32 s88, 0                                        // 000000006CF0: BF068058
	s_cselect_b32 s61, 2, 4                                    // 000000006CF4: 853D8482
	v_mul_lo_u32 v4, v4, s61                                   // 000000006CF8: D2850004 00007B04
	v_and_b32_e64 v5, v0, 1                                    // 000000006D00: D1130005 00010300
	v_add_u32_e32 v4, v4, v5                                   // 000000006D08: 68080B04
	v_lshlrev_b32_e32 v4, 2, v4                                // 000000006D0C: 24080882
	v_add_u32_e32 v50, v50, v4                                 // 000000006D10: 68640932
	v_add_u32_e32 v51, v51, v4                                 // 000000006D14: 68660933
	v_add_u32_e32 v52, v52, v4                                 // 000000006D18: 68680934
	v_add_u32_e32 v53, v53, v4                                 // 000000006D1C: 686A0935
	v_add_u32_e32 v54, v54, v4                                 // 000000006D20: 686C0936
	v_add_u32_e32 v55, v55, v4                                 // 000000006D24: 686E0937
	v_add_u32_e32 v56, v56, v4                                 // 000000006D28: 68700938
	v_add_u32_e32 v57, v57, v4                                 // 000000006D2C: 68720939
	v_add_u32_e32 v58, v58, v4                                 // 000000006D30: 6874093A
	v_add_u32_e32 v59, v59, v4                                 // 000000006D34: 6876093B
	s_waitcnt lgkmcnt(0)                                       // 000000006D38: BF8CC07F
	s_barrier                                                  // 000000006D3C: BF8A0000
	ds_read_b32 v64, v21                                       // 000000006D40: D86C0000 40000015
	ds_read_b32 v65, v21 offset:64                             // 000000006D48: D86C0040 41000015
	ds_read_b32 v68, v21 offset:2176                           // 000000006D50: D86C0880 44000015
	ds_read_b32 v69, v21 offset:2240                           // 000000006D58: D86C08C0 45000015
	ds_read_b32 v72, v21 offset:4352                           // 000000006D60: D86C1100 48000015
	ds_read_b32 v73, v21 offset:4416                           // 000000006D68: D86C1140 49000015
	ds_read_b32 v76, v21 offset:6528                           // 000000006D70: D86C1980 4C000015
	ds_read_b32 v77, v21 offset:6592                           // 000000006D78: D86C19C0 4D000015
	ds_read_b32 v80, v21 offset:8704                           // 000000006D80: D86C2200 50000015
	ds_read_b32 v81, v21 offset:8768                           // 000000006D88: D86C2240 51000015
	ds_read_b32 v84, v21 offset:10880                          // 000000006D90: D86C2A80 54000015
	ds_read_b32 v85, v21 offset:10944                          // 000000006D98: D86C2AC0 55000015
	ds_read_b32 v88, v21 offset:13056                          // 000000006DA0: D86C3300 58000015
	ds_read_b32 v89, v21 offset:13120                          // 000000006DA8: D86C3340 59000015
	ds_read_b32 v92, v21 offset:15232                          // 000000006DB0: D86C3B80 5C000015
	ds_read_b32 v93, v21 offset:15296                          // 000000006DB8: D86C3BC0 5D000015
	ds_read_b32 v96, v21 offset:17408                          // 000000006DC0: D86C4400 60000015
	ds_read_b32 v97, v21 offset:17472                          // 000000006DC8: D86C4440 61000015
	ds_read_b32 v100, v21 offset:19584                         // 000000006DD0: D86C4C80 64000015
	ds_read_b32 v101, v21 offset:19648                         // 000000006DD8: D86C4CC0 65000015
	s_waitcnt lgkmcnt(0)                                       // 000000006DE0: BF8CC07F
	s_mov_b32 s36, -1                                          // 000000006DE4: BEA400C1
	s_mov_b32 s37, -1                                          // 000000006DE8: BEA500C1
	v_mov_b32_e32 v7, 0                                        // 000000006DEC: 7E0E0280
	s_mov_b64 exec, s[36:37]                                   // 000000006DF0: BEFE0124
	v_mov_b32_e32 v6, v50                                      // 000000006DF4: 7E0C0332
	s_mov_b64 s[60:61], 0                                      // 000000006DF8: BEBC0180
	v_readlane_b32 s82, v3, 0                                  // 000000006DFC: D2890052 00010103
	s_and_b32 s82, s82, 0xffffff                               // 000000006E04: 8652FF52 00FFFFFF
	s_cmp_lt_u32 s82, s66                                      // 000000006E0C: BF0A4252
	s_cselect_b32 s20, s36, s60                                // 000000006E10: 85143C24
	v_readlane_b32 s82, v3, 1                                  // 000000006E14: D2890052 00010303
	s_and_b32 s82, s82, 0xffffff                               // 000000006E1C: 8652FF52 00FFFFFF
	s_cmp_lt_u32 s82, s66                                      // 000000006E24: BF0A4252
	s_cselect_b32 s21, s36, s60                                // 000000006E28: 85153C24
	s_mov_b64 exec, s[20:21]                                   // 000000006E2C: BEFE0114
	global_atomic_add_f32 v6, v64, s[8:9]                      // 000000006E30: DD348000 00084006
	global_atomic_add_f32 v6, v68, s[8:9] offset:256           // 000000006E38: DD348100 00084406
	s_mov_b64 exec, s[36:37]                                   // 000000006E40: BEFE0124
	v_mov_b32_e32 v6, v51                                      // 000000006E44: 7E0C0333
	s_mov_b64 s[60:61], 0                                      // 000000006E48: BEBC0180
	v_readlane_b32 s82, v3, 2                                  // 000000006E4C: D2890052 00010503
	s_and_b32 s82, s82, 0xffffff                               // 000000006E54: 8652FF52 00FFFFFF
	s_cmp_lt_u32 s82, s66                                      // 000000006E5C: BF0A4252
	s_cselect_b32 s20, s36, s60                                // 000000006E60: 85143C24
	v_readlane_b32 s82, v3, 3                                  // 000000006E64: D2890052 00010703
	s_and_b32 s82, s82, 0xffffff                               // 000000006E6C: 8652FF52 00FFFFFF
	s_cmp_lt_u32 s82, s66                                      // 000000006E74: BF0A4252
	s_cselect_b32 s21, s36, s60                                // 000000006E78: 85153C24
	s_mov_b64 exec, s[20:21]                                   // 000000006E7C: BEFE0114
	global_atomic_add_f32 v6, v65, s[8:9]                      // 000000006E80: DD348000 00084106
	global_atomic_add_f32 v6, v69, s[8:9] offset:256           // 000000006E88: DD348100 00084506
	s_mov_b64 exec, s[36:37]                                   // 000000006E90: BEFE0124
	v_mov_b32_e32 v6, v52                                      // 000000006E94: 7E0C0334
	s_mov_b64 s[60:61], 0                                      // 000000006E98: BEBC0180
	v_readlane_b32 s82, v3, 4                                  // 000000006E9C: D2890052 00010903
	s_and_b32 s82, s82, 0xffffff                               // 000000006EA4: 8652FF52 00FFFFFF
	s_cmp_lt_u32 s82, s66                                      // 000000006EAC: BF0A4252
	s_cselect_b32 s20, s36, s60                                // 000000006EB0: 85143C24
	v_readlane_b32 s82, v3, 5                                  // 000000006EB4: D2890052 00010B03
	s_and_b32 s82, s82, 0xffffff                               // 000000006EBC: 8652FF52 00FFFFFF
	s_cmp_lt_u32 s82, s66                                      // 000000006EC4: BF0A4252
	s_cselect_b32 s21, s36, s60                                // 000000006EC8: 85153C24
	s_mov_b64 exec, s[20:21]                                   // 000000006ECC: BEFE0114
	global_atomic_add_f32 v6, v72, s[8:9]                      // 000000006ED0: DD348000 00084806
	global_atomic_add_f32 v6, v76, s[8:9] offset:256           // 000000006ED8: DD348100 00084C06
	s_mov_b64 exec, s[36:37]                                   // 000000006EE0: BEFE0124
	v_mov_b32_e32 v6, v53                                      // 000000006EE4: 7E0C0335
	s_mov_b64 s[60:61], 0                                      // 000000006EE8: BEBC0180
	v_readlane_b32 s82, v3, 6                                  // 000000006EEC: D2890052 00010D03
	s_and_b32 s82, s82, 0xffffff                               // 000000006EF4: 8652FF52 00FFFFFF
	s_cmp_lt_u32 s82, s66                                      // 000000006EFC: BF0A4252
	s_cselect_b32 s20, s36, s60                                // 000000006F00: 85143C24
	v_readlane_b32 s82, v3, 7                                  // 000000006F04: D2890052 00010F03
	s_and_b32 s82, s82, 0xffffff                               // 000000006F0C: 8652FF52 00FFFFFF
	s_cmp_lt_u32 s82, s66                                      // 000000006F14: BF0A4252
	s_cselect_b32 s21, s36, s60                                // 000000006F18: 85153C24
	s_mov_b64 exec, s[20:21]                                   // 000000006F1C: BEFE0114
	global_atomic_add_f32 v6, v73, s[8:9]                      // 000000006F20: DD348000 00084906
	global_atomic_add_f32 v6, v77, s[8:9] offset:256           // 000000006F28: DD348100 00084D06
	s_mov_b64 exec, s[36:37]                                   // 000000006F30: BEFE0124
	v_mov_b32_e32 v6, v54                                      // 000000006F34: 7E0C0336
	s_mov_b64 s[60:61], 0                                      // 000000006F38: BEBC0180
	v_readlane_b32 s82, v3, 8                                  // 000000006F3C: D2890052 00011103
	s_and_b32 s82, s82, 0xffffff                               // 000000006F44: 8652FF52 00FFFFFF
	s_cmp_lt_u32 s82, s66                                      // 000000006F4C: BF0A4252
	s_cselect_b32 s20, s36, s60                                // 000000006F50: 85143C24
	v_readlane_b32 s82, v3, 9                                  // 000000006F54: D2890052 00011303
	s_and_b32 s82, s82, 0xffffff                               // 000000006F5C: 8652FF52 00FFFFFF
	s_cmp_lt_u32 s82, s66                                      // 000000006F64: BF0A4252
	s_cselect_b32 s21, s36, s60                                // 000000006F68: 85153C24
	s_mov_b64 exec, s[20:21]                                   // 000000006F6C: BEFE0114
	global_atomic_add_f32 v6, v80, s[8:9]                      // 000000006F70: DD348000 00085006
	global_atomic_add_f32 v6, v84, s[8:9] offset:256           // 000000006F78: DD348100 00085406
	s_mov_b64 exec, s[36:37]                                   // 000000006F80: BEFE0124
	v_mov_b32_e32 v6, v55                                      // 000000006F84: 7E0C0337
	s_mov_b64 s[60:61], 0                                      // 000000006F88: BEBC0180
	v_readlane_b32 s82, v3, 10                                 // 000000006F8C: D2890052 00011503
	s_and_b32 s82, s82, 0xffffff                               // 000000006F94: 8652FF52 00FFFFFF
	s_cmp_lt_u32 s82, s66                                      // 000000006F9C: BF0A4252
	s_cselect_b32 s20, s36, s60                                // 000000006FA0: 85143C24
	v_readlane_b32 s82, v3, 11                                 // 000000006FA4: D2890052 00011703
	s_and_b32 s82, s82, 0xffffff                               // 000000006FAC: 8652FF52 00FFFFFF
	s_cmp_lt_u32 s82, s66                                      // 000000006FB4: BF0A4252
	s_cselect_b32 s21, s36, s60                                // 000000006FB8: 85153C24
	s_mov_b64 exec, s[20:21]                                   // 000000006FBC: BEFE0114
	global_atomic_add_f32 v6, v81, s[8:9]                      // 000000006FC0: DD348000 00085106
	global_atomic_add_f32 v6, v85, s[8:9] offset:256           // 000000006FC8: DD348100 00085506
	s_mov_b64 exec, s[36:37]                                   // 000000006FD0: BEFE0124
	v_mov_b32_e32 v6, v56                                      // 000000006FD4: 7E0C0338
	s_mov_b64 s[60:61], 0                                      // 000000006FD8: BEBC0180
	v_readlane_b32 s82, v3, 12                                 // 000000006FDC: D2890052 00011903
	s_and_b32 s82, s82, 0xffffff                               // 000000006FE4: 8652FF52 00FFFFFF
	s_cmp_lt_u32 s82, s66                                      // 000000006FEC: BF0A4252
	s_cselect_b32 s20, s36, s60                                // 000000006FF0: 85143C24
	v_readlane_b32 s82, v3, 13                                 // 000000006FF4: D2890052 00011B03
	s_and_b32 s82, s82, 0xffffff                               // 000000006FFC: 8652FF52 00FFFFFF
	s_cmp_lt_u32 s82, s66                                      // 000000007004: BF0A4252
	s_cselect_b32 s21, s36, s60                                // 000000007008: 85153C24
	s_mov_b64 exec, s[20:21]                                   // 00000000700C: BEFE0114
	global_atomic_add_f32 v6, v88, s[8:9]                      // 000000007010: DD348000 00085806
	global_atomic_add_f32 v6, v92, s[8:9] offset:256           // 000000007018: DD348100 00085C06
	s_mov_b64 exec, s[36:37]                                   // 000000007020: BEFE0124
	v_mov_b32_e32 v6, v57                                      // 000000007024: 7E0C0339
	s_mov_b64 s[60:61], 0                                      // 000000007028: BEBC0180
	v_readlane_b32 s82, v3, 14                                 // 00000000702C: D2890052 00011D03
	s_and_b32 s82, s82, 0xffffff                               // 000000007034: 8652FF52 00FFFFFF
	s_cmp_lt_u32 s82, s66                                      // 00000000703C: BF0A4252
	s_cselect_b32 s20, s36, s60                                // 000000007040: 85143C24
	v_readlane_b32 s82, v3, 15                                 // 000000007044: D2890052 00011F03
	s_and_b32 s82, s82, 0xffffff                               // 00000000704C: 8652FF52 00FFFFFF
	s_cmp_lt_u32 s82, s66                                      // 000000007054: BF0A4252
	s_cselect_b32 s21, s36, s60                                // 000000007058: 85153C24
	s_mov_b64 exec, s[20:21]                                   // 00000000705C: BEFE0114
	global_atomic_add_f32 v6, v89, s[8:9]                      // 000000007060: DD348000 00085906
	global_atomic_add_f32 v6, v93, s[8:9] offset:256           // 000000007068: DD348100 00085D06
	s_mov_b64 exec, s[36:37]                                   // 000000007070: BEFE0124
	v_mov_b32_e32 v6, v58                                      // 000000007074: 7E0C033A
	s_mov_b64 s[60:61], 0                                      // 000000007078: BEBC0180
	v_readlane_b32 s82, v3, 16                                 // 00000000707C: D2890052 00012103
	s_and_b32 s82, s82, 0xffffff                               // 000000007084: 8652FF52 00FFFFFF
	s_cmp_lt_u32 s82, s66                                      // 00000000708C: BF0A4252
	s_cselect_b32 s20, s36, s60                                // 000000007090: 85143C24
	v_readlane_b32 s82, v3, 17                                 // 000000007094: D2890052 00012303
	s_and_b32 s82, s82, 0xffffff                               // 00000000709C: 8652FF52 00FFFFFF
	s_cmp_lt_u32 s82, s66                                      // 0000000070A4: BF0A4252
	s_cselect_b32 s21, s36, s60                                // 0000000070A8: 85153C24
	s_mov_b64 exec, s[20:21]                                   // 0000000070AC: BEFE0114
	global_atomic_add_f32 v6, v96, s[8:9]                      // 0000000070B0: DD348000 00086006
	global_atomic_add_f32 v6, v100, s[8:9] offset:256          // 0000000070B8: DD348100 00086406
	s_mov_b64 exec, s[36:37]                                   // 0000000070C0: BEFE0124
	v_mov_b32_e32 v6, v59                                      // 0000000070C4: 7E0C033B
	s_mov_b64 s[60:61], 0                                      // 0000000070C8: BEBC0180
	v_readlane_b32 s82, v3, 18                                 // 0000000070CC: D2890052 00012503
	s_and_b32 s82, s82, 0xffffff                               // 0000000070D4: 8652FF52 00FFFFFF
	s_cmp_lt_u32 s82, s66                                      // 0000000070DC: BF0A4252
	s_cselect_b32 s20, s36, s60                                // 0000000070E0: 85143C24
	v_readlane_b32 s82, v3, 19                                 // 0000000070E4: D2890052 00012703
	s_and_b32 s82, s82, 0xffffff                               // 0000000070EC: 8652FF52 00FFFFFF
	s_cmp_lt_u32 s82, s66                                      // 0000000070F4: BF0A4252
	s_cselect_b32 s21, s36, s60                                // 0000000070F8: 85153C24
	s_mov_b64 exec, s[20:21]                                   // 0000000070FC: BEFE0114
	global_atomic_add_f32 v6, v97, s[8:9]                      // 000000007100: DD348000 00086106
	global_atomic_add_f32 v6, v101, s[8:9] offset:256          // 000000007108: DD348100 00086506
	s_mov_b64 exec, s[36:37]                                   // 000000007110: BEFE0124
	ds_write_b64 v20, v[66:67]                                 // 000000007114: D89A0000 00004214
	ds_write_b64 v20, v[70:71] offset:4352                     // 00000000711C: D89A1100 00004614
	ds_write_b64 v20, v[74:75] offset:8704                     // 000000007124: D89A2200 00004A14
	ds_write_b64 v20, v[78:79] offset:13056                    // 00000000712C: D89A3300 00004E14
	ds_write_b64 v20, v[82:83] offset:17408                    // 000000007134: D89A4400 00005214
	ds_write_b64 v20, v[86:87] offset:2176                     // 00000000713C: D89A0880 00005614
	ds_write_b64 v20, v[90:91] offset:6528                     // 000000007144: D89A1980 00005A14
	ds_write_b64 v20, v[94:95] offset:10880                    // 00000000714C: D89A2A80 00005E14
	ds_write_b64 v20, v[98:99] offset:15232                    // 000000007154: D89A3B80 00006214
	ds_write_b64 v20, v[102:103] offset:19584                  // 00000000715C: D89A4C80 00006614
	s_waitcnt lgkmcnt(0)                                       // 000000007164: BF8CC07F
	s_barrier                                                  // 000000007168: BF8A0000
	ds_read_b32 v66, v21                                       // 00000000716C: D86C0000 42000015
	ds_read_b32 v67, v21 offset:64                             // 000000007174: D86C0040 43000015
	ds_read_b32 v70, v21 offset:2176                           // 00000000717C: D86C0880 46000015
	ds_read_b32 v71, v21 offset:2240                           // 000000007184: D86C08C0 47000015
	ds_read_b32 v74, v21 offset:4352                           // 00000000718C: D86C1100 4A000015
	ds_read_b32 v75, v21 offset:4416                           // 000000007194: D86C1140 4B000015
	ds_read_b32 v78, v21 offset:6528                           // 00000000719C: D86C1980 4E000015
	ds_read_b32 v79, v21 offset:6592                           // 0000000071A4: D86C19C0 4F000015
	ds_read_b32 v82, v21 offset:8704                           // 0000000071AC: D86C2200 52000015
	ds_read_b32 v83, v21 offset:8768                           // 0000000071B4: D86C2240 53000015
	ds_read_b32 v86, v21 offset:10880                          // 0000000071BC: D86C2A80 56000015
	ds_read_b32 v87, v21 offset:10944                          // 0000000071C4: D86C2AC0 57000015
	ds_read_b32 v90, v21 offset:13056                          // 0000000071CC: D86C3300 5A000015
	ds_read_b32 v91, v21 offset:13120                          // 0000000071D4: D86C3340 5B000015
	ds_read_b32 v94, v21 offset:15232                          // 0000000071DC: D86C3B80 5E000015
	ds_read_b32 v95, v21 offset:15296                          // 0000000071E4: D86C3BC0 5F000015
	ds_read_b32 v98, v21 offset:17408                          // 0000000071EC: D86C4400 62000015
	ds_read_b32 v99, v21 offset:17472                          // 0000000071F4: D86C4440 63000015
	ds_read_b32 v102, v21 offset:19584                         // 0000000071FC: D86C4C80 66000015
	ds_read_b32 v103, v21 offset:19648                         // 000000007204: D86C4CC0 67000015
	s_waitcnt lgkmcnt(0)                                       // 00000000720C: BF8CC07F
	v_mov_b32_e32 v7, 0                                        // 000000007210: 7E0E0280
	s_mov_b64 exec, s[36:37]                                   // 000000007214: BEFE0124
	v_mov_b32_e32 v6, v50                                      // 000000007218: 7E0C0332
	s_mov_b64 s[60:61], 0                                      // 00000000721C: BEBC0180
	v_readlane_b32 s82, v3, 0                                  // 000000007220: D2890052 00010103
	s_and_b32 s82, s82, 0xffffff                               // 000000007228: 8652FF52 00FFFFFF
	s_cmp_lt_u32 s82, s66                                      // 000000007230: BF0A4252
	s_cselect_b32 s20, s36, s60                                // 000000007234: 85143C24
	v_readlane_b32 s82, v3, 1                                  // 000000007238: D2890052 00010303
	s_and_b32 s82, s82, 0xffffff                               // 000000007240: 8652FF52 00FFFFFF
	s_cmp_lt_u32 s82, s66                                      // 000000007248: BF0A4252
	s_cselect_b32 s21, s36, s60                                // 00000000724C: 85153C24
	s_mov_b64 exec, s[20:21]                                   // 000000007250: BEFE0114
	global_atomic_add_f32 v6, v66, s[8:9] offset:8             // 000000007254: DD348008 00084206
	global_atomic_add_f32 v6, v70, s[8:9] offset:264           // 00000000725C: DD348108 00084606
	s_mov_b64 exec, s[36:37]                                   // 000000007264: BEFE0124
	v_mov_b32_e32 v6, v51                                      // 000000007268: 7E0C0333
	s_mov_b64 s[60:61], 0                                      // 00000000726C: BEBC0180
	v_readlane_b32 s82, v3, 2                                  // 000000007270: D2890052 00010503
	s_and_b32 s82, s82, 0xffffff                               // 000000007278: 8652FF52 00FFFFFF
	s_cmp_lt_u32 s82, s66                                      // 000000007280: BF0A4252
	s_cselect_b32 s20, s36, s60                                // 000000007284: 85143C24
	v_readlane_b32 s82, v3, 3                                  // 000000007288: D2890052 00010703
	s_and_b32 s82, s82, 0xffffff                               // 000000007290: 8652FF52 00FFFFFF
	s_cmp_lt_u32 s82, s66                                      // 000000007298: BF0A4252
	s_cselect_b32 s21, s36, s60                                // 00000000729C: 85153C24
	s_mov_b64 exec, s[20:21]                                   // 0000000072A0: BEFE0114
	global_atomic_add_f32 v6, v67, s[8:9] offset:8             // 0000000072A4: DD348008 00084306
	global_atomic_add_f32 v6, v71, s[8:9] offset:264           // 0000000072AC: DD348108 00084706
	s_mov_b64 exec, s[36:37]                                   // 0000000072B4: BEFE0124
	v_mov_b32_e32 v6, v52                                      // 0000000072B8: 7E0C0334
	s_mov_b64 s[60:61], 0                                      // 0000000072BC: BEBC0180
	v_readlane_b32 s82, v3, 4                                  // 0000000072C0: D2890052 00010903
	s_and_b32 s82, s82, 0xffffff                               // 0000000072C8: 8652FF52 00FFFFFF
	s_cmp_lt_u32 s82, s66                                      // 0000000072D0: BF0A4252
	s_cselect_b32 s20, s36, s60                                // 0000000072D4: 85143C24
	v_readlane_b32 s82, v3, 5                                  // 0000000072D8: D2890052 00010B03
	s_and_b32 s82, s82, 0xffffff                               // 0000000072E0: 8652FF52 00FFFFFF
	s_cmp_lt_u32 s82, s66                                      // 0000000072E8: BF0A4252
	s_cselect_b32 s21, s36, s60                                // 0000000072EC: 85153C24
	s_mov_b64 exec, s[20:21]                                   // 0000000072F0: BEFE0114
	global_atomic_add_f32 v6, v74, s[8:9] offset:8             // 0000000072F4: DD348008 00084A06
	global_atomic_add_f32 v6, v78, s[8:9] offset:264           // 0000000072FC: DD348108 00084E06
	s_mov_b64 exec, s[36:37]                                   // 000000007304: BEFE0124
	v_mov_b32_e32 v6, v53                                      // 000000007308: 7E0C0335
	s_mov_b64 s[60:61], 0                                      // 00000000730C: BEBC0180
	v_readlane_b32 s82, v3, 6                                  // 000000007310: D2890052 00010D03
	s_and_b32 s82, s82, 0xffffff                               // 000000007318: 8652FF52 00FFFFFF
	s_cmp_lt_u32 s82, s66                                      // 000000007320: BF0A4252
	s_cselect_b32 s20, s36, s60                                // 000000007324: 85143C24
	v_readlane_b32 s82, v3, 7                                  // 000000007328: D2890052 00010F03
	s_and_b32 s82, s82, 0xffffff                               // 000000007330: 8652FF52 00FFFFFF
	s_cmp_lt_u32 s82, s66                                      // 000000007338: BF0A4252
	s_cselect_b32 s21, s36, s60                                // 00000000733C: 85153C24
	s_mov_b64 exec, s[20:21]                                   // 000000007340: BEFE0114
	global_atomic_add_f32 v6, v75, s[8:9] offset:8             // 000000007344: DD348008 00084B06
	global_atomic_add_f32 v6, v79, s[8:9] offset:264           // 00000000734C: DD348108 00084F06
	s_mov_b64 exec, s[36:37]                                   // 000000007354: BEFE0124
	v_mov_b32_e32 v6, v54                                      // 000000007358: 7E0C0336
	s_mov_b64 s[60:61], 0                                      // 00000000735C: BEBC0180
	v_readlane_b32 s82, v3, 8                                  // 000000007360: D2890052 00011103
	s_and_b32 s82, s82, 0xffffff                               // 000000007368: 8652FF52 00FFFFFF
	s_cmp_lt_u32 s82, s66                                      // 000000007370: BF0A4252
	s_cselect_b32 s20, s36, s60                                // 000000007374: 85143C24
	v_readlane_b32 s82, v3, 9                                  // 000000007378: D2890052 00011303
	s_and_b32 s82, s82, 0xffffff                               // 000000007380: 8652FF52 00FFFFFF
	s_cmp_lt_u32 s82, s66                                      // 000000007388: BF0A4252
	s_cselect_b32 s21, s36, s60                                // 00000000738C: 85153C24
	s_mov_b64 exec, s[20:21]                                   // 000000007390: BEFE0114
	global_atomic_add_f32 v6, v82, s[8:9] offset:8             // 000000007394: DD348008 00085206
	global_atomic_add_f32 v6, v86, s[8:9] offset:264           // 00000000739C: DD348108 00085606
	s_mov_b64 exec, s[36:37]                                   // 0000000073A4: BEFE0124
	v_mov_b32_e32 v6, v55                                      // 0000000073A8: 7E0C0337
	s_mov_b64 s[60:61], 0                                      // 0000000073AC: BEBC0180
	v_readlane_b32 s82, v3, 10                                 // 0000000073B0: D2890052 00011503
	s_and_b32 s82, s82, 0xffffff                               // 0000000073B8: 8652FF52 00FFFFFF
	s_cmp_lt_u32 s82, s66                                      // 0000000073C0: BF0A4252
	s_cselect_b32 s20, s36, s60                                // 0000000073C4: 85143C24
	v_readlane_b32 s82, v3, 11                                 // 0000000073C8: D2890052 00011703
	s_and_b32 s82, s82, 0xffffff                               // 0000000073D0: 8652FF52 00FFFFFF
	s_cmp_lt_u32 s82, s66                                      // 0000000073D8: BF0A4252
	s_cselect_b32 s21, s36, s60                                // 0000000073DC: 85153C24
	s_mov_b64 exec, s[20:21]                                   // 0000000073E0: BEFE0114
	global_atomic_add_f32 v6, v83, s[8:9] offset:8             // 0000000073E4: DD348008 00085306
	global_atomic_add_f32 v6, v87, s[8:9] offset:264           // 0000000073EC: DD348108 00085706
	s_mov_b64 exec, s[36:37]                                   // 0000000073F4: BEFE0124
	v_mov_b32_e32 v6, v56                                      // 0000000073F8: 7E0C0338
	s_mov_b64 s[60:61], 0                                      // 0000000073FC: BEBC0180
	v_readlane_b32 s82, v3, 12                                 // 000000007400: D2890052 00011903
	s_and_b32 s82, s82, 0xffffff                               // 000000007408: 8652FF52 00FFFFFF
	s_cmp_lt_u32 s82, s66                                      // 000000007410: BF0A4252
	s_cselect_b32 s20, s36, s60                                // 000000007414: 85143C24
	v_readlane_b32 s82, v3, 13                                 // 000000007418: D2890052 00011B03
	s_and_b32 s82, s82, 0xffffff                               // 000000007420: 8652FF52 00FFFFFF
	s_cmp_lt_u32 s82, s66                                      // 000000007428: BF0A4252
	s_cselect_b32 s21, s36, s60                                // 00000000742C: 85153C24
	s_mov_b64 exec, s[20:21]                                   // 000000007430: BEFE0114
	global_atomic_add_f32 v6, v90, s[8:9] offset:8             // 000000007434: DD348008 00085A06
	global_atomic_add_f32 v6, v94, s[8:9] offset:264           // 00000000743C: DD348108 00085E06
	s_mov_b64 exec, s[36:37]                                   // 000000007444: BEFE0124
	v_mov_b32_e32 v6, v57                                      // 000000007448: 7E0C0339
	s_mov_b64 s[60:61], 0                                      // 00000000744C: BEBC0180
	v_readlane_b32 s82, v3, 14                                 // 000000007450: D2890052 00011D03
	s_and_b32 s82, s82, 0xffffff                               // 000000007458: 8652FF52 00FFFFFF
	s_cmp_lt_u32 s82, s66                                      // 000000007460: BF0A4252
	s_cselect_b32 s20, s36, s60                                // 000000007464: 85143C24
	v_readlane_b32 s82, v3, 15                                 // 000000007468: D2890052 00011F03
	s_and_b32 s82, s82, 0xffffff                               // 000000007470: 8652FF52 00FFFFFF
	s_cmp_lt_u32 s82, s66                                      // 000000007478: BF0A4252
	s_cselect_b32 s21, s36, s60                                // 00000000747C: 85153C24
	s_mov_b64 exec, s[20:21]                                   // 000000007480: BEFE0114
	global_atomic_add_f32 v6, v91, s[8:9] offset:8             // 000000007484: DD348008 00085B06
	global_atomic_add_f32 v6, v95, s[8:9] offset:264           // 00000000748C: DD348108 00085F06
	s_mov_b64 exec, s[36:37]                                   // 000000007494: BEFE0124
	v_mov_b32_e32 v6, v58                                      // 000000007498: 7E0C033A
	s_mov_b64 s[60:61], 0                                      // 00000000749C: BEBC0180
	v_readlane_b32 s82, v3, 16                                 // 0000000074A0: D2890052 00012103
	s_and_b32 s82, s82, 0xffffff                               // 0000000074A8: 8652FF52 00FFFFFF
	s_cmp_lt_u32 s82, s66                                      // 0000000074B0: BF0A4252
	s_cselect_b32 s20, s36, s60                                // 0000000074B4: 85143C24
	v_readlane_b32 s82, v3, 17                                 // 0000000074B8: D2890052 00012303
	s_and_b32 s82, s82, 0xffffff                               // 0000000074C0: 8652FF52 00FFFFFF
	s_cmp_lt_u32 s82, s66                                      // 0000000074C8: BF0A4252
	s_cselect_b32 s21, s36, s60                                // 0000000074CC: 85153C24
	s_mov_b64 exec, s[20:21]                                   // 0000000074D0: BEFE0114
	global_atomic_add_f32 v6, v98, s[8:9] offset:8             // 0000000074D4: DD348008 00086206
	global_atomic_add_f32 v6, v102, s[8:9] offset:264          // 0000000074DC: DD348108 00086606
	s_mov_b64 exec, s[36:37]                                   // 0000000074E4: BEFE0124
	v_mov_b32_e32 v6, v59                                      // 0000000074E8: 7E0C033B
	s_mov_b64 s[60:61], 0                                      // 0000000074EC: BEBC0180
	v_readlane_b32 s82, v3, 18                                 // 0000000074F0: D2890052 00012503
	s_and_b32 s82, s82, 0xffffff                               // 0000000074F8: 8652FF52 00FFFFFF
	s_cmp_lt_u32 s82, s66                                      // 000000007500: BF0A4252
	s_cselect_b32 s20, s36, s60                                // 000000007504: 85143C24
	v_readlane_b32 s82, v3, 19                                 // 000000007508: D2890052 00012703
	s_and_b32 s82, s82, 0xffffff                               // 000000007510: 8652FF52 00FFFFFF
	s_cmp_lt_u32 s82, s66                                      // 000000007518: BF0A4252
	s_cselect_b32 s21, s36, s60                                // 00000000751C: 85153C24
	s_mov_b64 exec, s[20:21]                                   // 000000007520: BEFE0114
	global_atomic_add_f32 v6, v99, s[8:9] offset:8             // 000000007524: DD348008 00086306
	global_atomic_add_f32 v6, v103, s[8:9] offset:264          // 00000000752C: DD348108 00086706
	s_mov_b64 exec, s[36:37]                                   // 000000007534: BEFE0124
	ds_write_b64 v20, v[104:105]                               // 000000007538: D89A0000 00006814
	ds_write_b64 v20, v[108:109] offset:4352                   // 000000007540: D89A1100 00006C14
	ds_write_b64 v20, v[112:113] offset:8704                   // 000000007548: D89A2200 00007014
	ds_write_b64 v20, v[116:117] offset:13056                  // 000000007550: D89A3300 00007414
	ds_write_b64 v20, v[120:121] offset:17408                  // 000000007558: D89A4400 00007814
	ds_write_b64 v20, v[124:125] offset:2176                   // 000000007560: D89A0880 00007C14
	ds_write_b64 v20, v[128:129] offset:6528                   // 000000007568: D89A1980 00008014
	ds_write_b64 v20, v[132:133] offset:10880                  // 000000007570: D89A2A80 00008414
	ds_write_b64 v20, v[136:137] offset:15232                  // 000000007578: D89A3B80 00008814
	ds_write_b64 v20, v[140:141] offset:19584                  // 000000007580: D89A4C80 00008C14
	s_waitcnt lgkmcnt(0)                                       // 000000007588: BF8CC07F
	s_barrier                                                  // 00000000758C: BF8A0000
	ds_read_b32 v104, v21                                      // 000000007590: D86C0000 68000015
	ds_read_b32 v105, v21 offset:64                            // 000000007598: D86C0040 69000015
	ds_read_b32 v108, v21 offset:2176                          // 0000000075A0: D86C0880 6C000015
	ds_read_b32 v109, v21 offset:2240                          // 0000000075A8: D86C08C0 6D000015
	ds_read_b32 v112, v21 offset:4352                          // 0000000075B0: D86C1100 70000015
	ds_read_b32 v113, v21 offset:4416                          // 0000000075B8: D86C1140 71000015
	ds_read_b32 v116, v21 offset:6528                          // 0000000075C0: D86C1980 74000015
	ds_read_b32 v117, v21 offset:6592                          // 0000000075C8: D86C19C0 75000015
	ds_read_b32 v120, v21 offset:8704                          // 0000000075D0: D86C2200 78000015
	ds_read_b32 v121, v21 offset:8768                          // 0000000075D8: D86C2240 79000015
	ds_read_b32 v124, v21 offset:10880                         // 0000000075E0: D86C2A80 7C000015
	ds_read_b32 v125, v21 offset:10944                         // 0000000075E8: D86C2AC0 7D000015
	ds_read_b32 v128, v21 offset:13056                         // 0000000075F0: D86C3300 80000015
	ds_read_b32 v129, v21 offset:13120                         // 0000000075F8: D86C3340 81000015
	ds_read_b32 v132, v21 offset:15232                         // 000000007600: D86C3B80 84000015
	ds_read_b32 v133, v21 offset:15296                         // 000000007608: D86C3BC0 85000015
	ds_read_b32 v136, v21 offset:17408                         // 000000007610: D86C4400 88000015
	ds_read_b32 v137, v21 offset:17472                         // 000000007618: D86C4440 89000015
	ds_read_b32 v140, v21 offset:19584                         // 000000007620: D86C4C80 8C000015
	ds_read_b32 v141, v21 offset:19648                         // 000000007628: D86C4CC0 8D000015
	s_mul_i32 s60, s65, 4                                      // 000000007630: 923C8441
	s_add_u32 s8, s60, s8                                      // 000000007634: 8008083C
	s_addc_u32 s9, 0, s9                                       // 000000007638: 82090980
	s_waitcnt lgkmcnt(0)                                       // 00000000763C: BF8CC07F
	v_mov_b32_e32 v7, 0                                        // 000000007640: 7E0E0280
	s_mov_b64 exec, s[36:37]                                   // 000000007644: BEFE0124
	v_mov_b32_e32 v6, v50                                      // 000000007648: 7E0C0332
	s_mov_b64 s[60:61], 0                                      // 00000000764C: BEBC0180
	v_readlane_b32 s82, v3, 0                                  // 000000007650: D2890052 00010103
	s_and_b32 s82, s82, 0xffffff                               // 000000007658: 8652FF52 00FFFFFF
	s_cmp_lt_u32 s82, s66                                      // 000000007660: BF0A4252
	s_cselect_b32 s20, s36, s60                                // 000000007664: 85143C24
	v_readlane_b32 s82, v3, 1                                  // 000000007668: D2890052 00010303
	s_and_b32 s82, s82, 0xffffff                               // 000000007670: 8652FF52 00FFFFFF
	s_cmp_lt_u32 s82, s66                                      // 000000007678: BF0A4252
	s_cselect_b32 s21, s36, s60                                // 00000000767C: 85153C24
	s_mov_b64 exec, s[20:21]                                   // 000000007680: BEFE0114
	global_atomic_add_f32 v6, v104, s[8:9]                     // 000000007684: DD348000 00086806
	global_atomic_add_f32 v6, v108, s[8:9] offset:256          // 00000000768C: DD348100 00086C06
	s_mov_b64 exec, s[36:37]                                   // 000000007694: BEFE0124
	v_mov_b32_e32 v6, v51                                      // 000000007698: 7E0C0333
	s_mov_b64 s[60:61], 0                                      // 00000000769C: BEBC0180
	v_readlane_b32 s82, v3, 2                                  // 0000000076A0: D2890052 00010503
	s_and_b32 s82, s82, 0xffffff                               // 0000000076A8: 8652FF52 00FFFFFF
	s_cmp_lt_u32 s82, s66                                      // 0000000076B0: BF0A4252
	s_cselect_b32 s20, s36, s60                                // 0000000076B4: 85143C24
	v_readlane_b32 s82, v3, 3                                  // 0000000076B8: D2890052 00010703
	s_and_b32 s82, s82, 0xffffff                               // 0000000076C0: 8652FF52 00FFFFFF
	s_cmp_lt_u32 s82, s66                                      // 0000000076C8: BF0A4252
	s_cselect_b32 s21, s36, s60                                // 0000000076CC: 85153C24
	s_mov_b64 exec, s[20:21]                                   // 0000000076D0: BEFE0114
	global_atomic_add_f32 v6, v105, s[8:9]                     // 0000000076D4: DD348000 00086906
	global_atomic_add_f32 v6, v109, s[8:9] offset:256          // 0000000076DC: DD348100 00086D06
	s_mov_b64 exec, s[36:37]                                   // 0000000076E4: BEFE0124
	v_mov_b32_e32 v6, v52                                      // 0000000076E8: 7E0C0334
	s_mov_b64 s[60:61], 0                                      // 0000000076EC: BEBC0180
	v_readlane_b32 s82, v3, 4                                  // 0000000076F0: D2890052 00010903
	s_and_b32 s82, s82, 0xffffff                               // 0000000076F8: 8652FF52 00FFFFFF
	s_cmp_lt_u32 s82, s66                                      // 000000007700: BF0A4252
	s_cselect_b32 s20, s36, s60                                // 000000007704: 85143C24
	v_readlane_b32 s82, v3, 5                                  // 000000007708: D2890052 00010B03
	s_and_b32 s82, s82, 0xffffff                               // 000000007710: 8652FF52 00FFFFFF
	s_cmp_lt_u32 s82, s66                                      // 000000007718: BF0A4252
	s_cselect_b32 s21, s36, s60                                // 00000000771C: 85153C24
	s_mov_b64 exec, s[20:21]                                   // 000000007720: BEFE0114
	global_atomic_add_f32 v6, v112, s[8:9]                     // 000000007724: DD348000 00087006
	global_atomic_add_f32 v6, v116, s[8:9] offset:256          // 00000000772C: DD348100 00087406
	s_mov_b64 exec, s[36:37]                                   // 000000007734: BEFE0124
	v_mov_b32_e32 v6, v53                                      // 000000007738: 7E0C0335
	s_mov_b64 s[60:61], 0                                      // 00000000773C: BEBC0180
	v_readlane_b32 s82, v3, 6                                  // 000000007740: D2890052 00010D03
	s_and_b32 s82, s82, 0xffffff                               // 000000007748: 8652FF52 00FFFFFF
	s_cmp_lt_u32 s82, s66                                      // 000000007750: BF0A4252
	s_cselect_b32 s20, s36, s60                                // 000000007754: 85143C24
	v_readlane_b32 s82, v3, 7                                  // 000000007758: D2890052 00010F03
	s_and_b32 s82, s82, 0xffffff                               // 000000007760: 8652FF52 00FFFFFF
	s_cmp_lt_u32 s82, s66                                      // 000000007768: BF0A4252
	s_cselect_b32 s21, s36, s60                                // 00000000776C: 85153C24
	s_mov_b64 exec, s[20:21]                                   // 000000007770: BEFE0114
	global_atomic_add_f32 v6, v113, s[8:9]                     // 000000007774: DD348000 00087106
	global_atomic_add_f32 v6, v117, s[8:9] offset:256          // 00000000777C: DD348100 00087506
	s_mov_b64 exec, s[36:37]                                   // 000000007784: BEFE0124
	v_mov_b32_e32 v6, v54                                      // 000000007788: 7E0C0336
	s_mov_b64 s[60:61], 0                                      // 00000000778C: BEBC0180
	v_readlane_b32 s82, v3, 8                                  // 000000007790: D2890052 00011103
	s_and_b32 s82, s82, 0xffffff                               // 000000007798: 8652FF52 00FFFFFF
	s_cmp_lt_u32 s82, s66                                      // 0000000077A0: BF0A4252
	s_cselect_b32 s20, s36, s60                                // 0000000077A4: 85143C24
	v_readlane_b32 s82, v3, 9                                  // 0000000077A8: D2890052 00011303
	s_and_b32 s82, s82, 0xffffff                               // 0000000077B0: 8652FF52 00FFFFFF
	s_cmp_lt_u32 s82, s66                                      // 0000000077B8: BF0A4252
	s_cselect_b32 s21, s36, s60                                // 0000000077BC: 85153C24
	s_mov_b64 exec, s[20:21]                                   // 0000000077C0: BEFE0114
	global_atomic_add_f32 v6, v120, s[8:9]                     // 0000000077C4: DD348000 00087806
	global_atomic_add_f32 v6, v124, s[8:9] offset:256          // 0000000077CC: DD348100 00087C06
	s_mov_b64 exec, s[36:37]                                   // 0000000077D4: BEFE0124
	v_mov_b32_e32 v6, v55                                      // 0000000077D8: 7E0C0337
	s_mov_b64 s[60:61], 0                                      // 0000000077DC: BEBC0180
	v_readlane_b32 s82, v3, 10                                 // 0000000077E0: D2890052 00011503
	s_and_b32 s82, s82, 0xffffff                               // 0000000077E8: 8652FF52 00FFFFFF
	s_cmp_lt_u32 s82, s66                                      // 0000000077F0: BF0A4252
	s_cselect_b32 s20, s36, s60                                // 0000000077F4: 85143C24
	v_readlane_b32 s82, v3, 11                                 // 0000000077F8: D2890052 00011703
	s_and_b32 s82, s82, 0xffffff                               // 000000007800: 8652FF52 00FFFFFF
	s_cmp_lt_u32 s82, s66                                      // 000000007808: BF0A4252
	s_cselect_b32 s21, s36, s60                                // 00000000780C: 85153C24
	s_mov_b64 exec, s[20:21]                                   // 000000007810: BEFE0114
	global_atomic_add_f32 v6, v121, s[8:9]                     // 000000007814: DD348000 00087906
	global_atomic_add_f32 v6, v125, s[8:9] offset:256          // 00000000781C: DD348100 00087D06
	s_mov_b64 exec, s[36:37]                                   // 000000007824: BEFE0124
	v_mov_b32_e32 v6, v56                                      // 000000007828: 7E0C0338
	s_mov_b64 s[60:61], 0                                      // 00000000782C: BEBC0180
	v_readlane_b32 s82, v3, 12                                 // 000000007830: D2890052 00011903
	s_and_b32 s82, s82, 0xffffff                               // 000000007838: 8652FF52 00FFFFFF
	s_cmp_lt_u32 s82, s66                                      // 000000007840: BF0A4252
	s_cselect_b32 s20, s36, s60                                // 000000007844: 85143C24
	v_readlane_b32 s82, v3, 13                                 // 000000007848: D2890052 00011B03
	s_and_b32 s82, s82, 0xffffff                               // 000000007850: 8652FF52 00FFFFFF
	s_cmp_lt_u32 s82, s66                                      // 000000007858: BF0A4252
	s_cselect_b32 s21, s36, s60                                // 00000000785C: 85153C24
	s_mov_b64 exec, s[20:21]                                   // 000000007860: BEFE0114
	global_atomic_add_f32 v6, v128, s[8:9]                     // 000000007864: DD348000 00088006
	global_atomic_add_f32 v6, v132, s[8:9] offset:256          // 00000000786C: DD348100 00088406
	s_mov_b64 exec, s[36:37]                                   // 000000007874: BEFE0124
	v_mov_b32_e32 v6, v57                                      // 000000007878: 7E0C0339
	s_mov_b64 s[60:61], 0                                      // 00000000787C: BEBC0180
	v_readlane_b32 s82, v3, 14                                 // 000000007880: D2890052 00011D03
	s_and_b32 s82, s82, 0xffffff                               // 000000007888: 8652FF52 00FFFFFF
	s_cmp_lt_u32 s82, s66                                      // 000000007890: BF0A4252
	s_cselect_b32 s20, s36, s60                                // 000000007894: 85143C24
	v_readlane_b32 s82, v3, 15                                 // 000000007898: D2890052 00011F03
	s_and_b32 s82, s82, 0xffffff                               // 0000000078A0: 8652FF52 00FFFFFF
	s_cmp_lt_u32 s82, s66                                      // 0000000078A8: BF0A4252
	s_cselect_b32 s21, s36, s60                                // 0000000078AC: 85153C24
	s_mov_b64 exec, s[20:21]                                   // 0000000078B0: BEFE0114
	global_atomic_add_f32 v6, v129, s[8:9]                     // 0000000078B4: DD348000 00088106
	global_atomic_add_f32 v6, v133, s[8:9] offset:256          // 0000000078BC: DD348100 00088506
	s_mov_b64 exec, s[36:37]                                   // 0000000078C4: BEFE0124
	v_mov_b32_e32 v6, v58                                      // 0000000078C8: 7E0C033A
	s_mov_b64 s[60:61], 0                                      // 0000000078CC: BEBC0180
	v_readlane_b32 s82, v3, 16                                 // 0000000078D0: D2890052 00012103
	s_and_b32 s82, s82, 0xffffff                               // 0000000078D8: 8652FF52 00FFFFFF
	s_cmp_lt_u32 s82, s66                                      // 0000000078E0: BF0A4252
	s_cselect_b32 s20, s36, s60                                // 0000000078E4: 85143C24
	v_readlane_b32 s82, v3, 17                                 // 0000000078E8: D2890052 00012303
	s_and_b32 s82, s82, 0xffffff                               // 0000000078F0: 8652FF52 00FFFFFF
	s_cmp_lt_u32 s82, s66                                      // 0000000078F8: BF0A4252
	s_cselect_b32 s21, s36, s60                                // 0000000078FC: 85153C24
	s_mov_b64 exec, s[20:21]                                   // 000000007900: BEFE0114
	global_atomic_add_f32 v6, v136, s[8:9]                     // 000000007904: DD348000 00088806
	global_atomic_add_f32 v6, v140, s[8:9] offset:256          // 00000000790C: DD348100 00088C06
	s_mov_b64 exec, s[36:37]                                   // 000000007914: BEFE0124
	v_mov_b32_e32 v6, v59                                      // 000000007918: 7E0C033B
	s_mov_b64 s[60:61], 0                                      // 00000000791C: BEBC0180
	v_readlane_b32 s82, v3, 18                                 // 000000007920: D2890052 00012503
	s_and_b32 s82, s82, 0xffffff                               // 000000007928: 8652FF52 00FFFFFF
	s_cmp_lt_u32 s82, s66                                      // 000000007930: BF0A4252
	s_cselect_b32 s20, s36, s60                                // 000000007934: 85143C24
	v_readlane_b32 s82, v3, 19                                 // 000000007938: D2890052 00012703
	s_and_b32 s82, s82, 0xffffff                               // 000000007940: 8652FF52 00FFFFFF
	s_cmp_lt_u32 s82, s66                                      // 000000007948: BF0A4252
	s_cselect_b32 s21, s36, s60                                // 00000000794C: 85153C24
	s_mov_b64 exec, s[20:21]                                   // 000000007950: BEFE0114
	global_atomic_add_f32 v6, v137, s[8:9]                     // 000000007954: DD348000 00088906
	global_atomic_add_f32 v6, v141, s[8:9] offset:256          // 00000000795C: DD348100 00088D06
	s_mov_b64 exec, s[36:37]                                   // 000000007964: BEFE0124
	ds_write_b64 v20, v[106:107]                               // 000000007968: D89A0000 00006A14
	ds_write_b64 v20, v[110:111] offset:4352                   // 000000007970: D89A1100 00006E14
	ds_write_b64 v20, v[114:115] offset:8704                   // 000000007978: D89A2200 00007214
	ds_write_b64 v20, v[118:119] offset:13056                  // 000000007980: D89A3300 00007614
	ds_write_b64 v20, v[122:123] offset:17408                  // 000000007988: D89A4400 00007A14
	ds_write_b64 v20, v[126:127] offset:2176                   // 000000007990: D89A0880 00007E14
	ds_write_b64 v20, v[130:131] offset:6528                   // 000000007998: D89A1980 00008214
	ds_write_b64 v20, v[134:135] offset:10880                  // 0000000079A0: D89A2A80 00008614
	ds_write_b64 v20, v[138:139] offset:15232                  // 0000000079A8: D89A3B80 00008A14
	ds_write_b64 v20, v[142:143] offset:19584                  // 0000000079B0: D89A4C80 00008E14
	s_waitcnt lgkmcnt(0)                                       // 0000000079B8: BF8CC07F
	s_barrier                                                  // 0000000079BC: BF8A0000
	ds_read_b32 v106, v21                                      // 0000000079C0: D86C0000 6A000015
	ds_read_b32 v107, v21 offset:64                            // 0000000079C8: D86C0040 6B000015
	ds_read_b32 v110, v21 offset:2176                          // 0000000079D0: D86C0880 6E000015
	ds_read_b32 v111, v21 offset:2240                          // 0000000079D8: D86C08C0 6F000015
	ds_read_b32 v114, v21 offset:4352                          // 0000000079E0: D86C1100 72000015
	ds_read_b32 v115, v21 offset:4416                          // 0000000079E8: D86C1140 73000015
	ds_read_b32 v118, v21 offset:6528                          // 0000000079F0: D86C1980 76000015
	ds_read_b32 v119, v21 offset:6592                          // 0000000079F8: D86C19C0 77000015
	ds_read_b32 v122, v21 offset:8704                          // 000000007A00: D86C2200 7A000015
	ds_read_b32 v123, v21 offset:8768                          // 000000007A08: D86C2240 7B000015
	ds_read_b32 v126, v21 offset:10880                         // 000000007A10: D86C2A80 7E000015
	ds_read_b32 v127, v21 offset:10944                         // 000000007A18: D86C2AC0 7F000015
	ds_read_b32 v130, v21 offset:13056                         // 000000007A20: D86C3300 82000015
	ds_read_b32 v131, v21 offset:13120                         // 000000007A28: D86C3340 83000015
	ds_read_b32 v134, v21 offset:15232                         // 000000007A30: D86C3B80 86000015
	ds_read_b32 v135, v21 offset:15296                         // 000000007A38: D86C3BC0 87000015
	ds_read_b32 v138, v21 offset:17408                         // 000000007A40: D86C4400 8A000015
	ds_read_b32 v139, v21 offset:17472                         // 000000007A48: D86C4440 8B000015
	ds_read_b32 v142, v21 offset:19584                         // 000000007A50: D86C4C80 8E000015
	ds_read_b32 v143, v21 offset:19648                         // 000000007A58: D86C4CC0 8F000015
	s_waitcnt lgkmcnt(0)                                       // 000000007A60: BF8CC07F
	v_mov_b32_e32 v7, 0                                        // 000000007A64: 7E0E0280
	s_mov_b64 exec, s[36:37]                                   // 000000007A68: BEFE0124
	v_mov_b32_e32 v6, v50                                      // 000000007A6C: 7E0C0332
	s_mov_b64 s[60:61], 0                                      // 000000007A70: BEBC0180
	v_readlane_b32 s82, v3, 0                                  // 000000007A74: D2890052 00010103
	s_and_b32 s82, s82, 0xffffff                               // 000000007A7C: 8652FF52 00FFFFFF
	s_cmp_lt_u32 s82, s66                                      // 000000007A84: BF0A4252
	s_cselect_b32 s20, s36, s60                                // 000000007A88: 85143C24
	v_readlane_b32 s82, v3, 1                                  // 000000007A8C: D2890052 00010303
	s_and_b32 s82, s82, 0xffffff                               // 000000007A94: 8652FF52 00FFFFFF
	s_cmp_lt_u32 s82, s66                                      // 000000007A9C: BF0A4252
	s_cselect_b32 s21, s36, s60                                // 000000007AA0: 85153C24
	s_mov_b64 exec, s[20:21]                                   // 000000007AA4: BEFE0114
	global_atomic_add_f32 v6, v106, s[8:9] offset:8            // 000000007AA8: DD348008 00086A06
	global_atomic_add_f32 v6, v110, s[8:9] offset:264          // 000000007AB0: DD348108 00086E06
	s_mov_b64 exec, s[36:37]                                   // 000000007AB8: BEFE0124
	v_mov_b32_e32 v6, v51                                      // 000000007ABC: 7E0C0333
	s_mov_b64 s[60:61], 0                                      // 000000007AC0: BEBC0180
	v_readlane_b32 s82, v3, 2                                  // 000000007AC4: D2890052 00010503
	s_and_b32 s82, s82, 0xffffff                               // 000000007ACC: 8652FF52 00FFFFFF
	s_cmp_lt_u32 s82, s66                                      // 000000007AD4: BF0A4252
	s_cselect_b32 s20, s36, s60                                // 000000007AD8: 85143C24
	v_readlane_b32 s82, v3, 3                                  // 000000007ADC: D2890052 00010703
	s_and_b32 s82, s82, 0xffffff                               // 000000007AE4: 8652FF52 00FFFFFF
	s_cmp_lt_u32 s82, s66                                      // 000000007AEC: BF0A4252
	s_cselect_b32 s21, s36, s60                                // 000000007AF0: 85153C24
	s_mov_b64 exec, s[20:21]                                   // 000000007AF4: BEFE0114
	global_atomic_add_f32 v6, v107, s[8:9] offset:8            // 000000007AF8: DD348008 00086B06
	global_atomic_add_f32 v6, v111, s[8:9] offset:264          // 000000007B00: DD348108 00086F06
	s_mov_b64 exec, s[36:37]                                   // 000000007B08: BEFE0124
	v_mov_b32_e32 v6, v52                                      // 000000007B0C: 7E0C0334
	s_mov_b64 s[60:61], 0                                      // 000000007B10: BEBC0180
	v_readlane_b32 s82, v3, 4                                  // 000000007B14: D2890052 00010903
	s_and_b32 s82, s82, 0xffffff                               // 000000007B1C: 8652FF52 00FFFFFF
	s_cmp_lt_u32 s82, s66                                      // 000000007B24: BF0A4252
	s_cselect_b32 s20, s36, s60                                // 000000007B28: 85143C24
	v_readlane_b32 s82, v3, 5                                  // 000000007B2C: D2890052 00010B03
	s_and_b32 s82, s82, 0xffffff                               // 000000007B34: 8652FF52 00FFFFFF
	s_cmp_lt_u32 s82, s66                                      // 000000007B3C: BF0A4252
	s_cselect_b32 s21, s36, s60                                // 000000007B40: 85153C24
	s_mov_b64 exec, s[20:21]                                   // 000000007B44: BEFE0114
	global_atomic_add_f32 v6, v114, s[8:9] offset:8            // 000000007B48: DD348008 00087206
	global_atomic_add_f32 v6, v118, s[8:9] offset:264          // 000000007B50: DD348108 00087606
	s_mov_b64 exec, s[36:37]                                   // 000000007B58: BEFE0124
	v_mov_b32_e32 v6, v53                                      // 000000007B5C: 7E0C0335
	s_mov_b64 s[60:61], 0                                      // 000000007B60: BEBC0180
	v_readlane_b32 s82, v3, 6                                  // 000000007B64: D2890052 00010D03
	s_and_b32 s82, s82, 0xffffff                               // 000000007B6C: 8652FF52 00FFFFFF
	s_cmp_lt_u32 s82, s66                                      // 000000007B74: BF0A4252
	s_cselect_b32 s20, s36, s60                                // 000000007B78: 85143C24
	v_readlane_b32 s82, v3, 7                                  // 000000007B7C: D2890052 00010F03
	s_and_b32 s82, s82, 0xffffff                               // 000000007B84: 8652FF52 00FFFFFF
	s_cmp_lt_u32 s82, s66                                      // 000000007B8C: BF0A4252
	s_cselect_b32 s21, s36, s60                                // 000000007B90: 85153C24
	s_mov_b64 exec, s[20:21]                                   // 000000007B94: BEFE0114
	global_atomic_add_f32 v6, v115, s[8:9] offset:8            // 000000007B98: DD348008 00087306
	global_atomic_add_f32 v6, v119, s[8:9] offset:264          // 000000007BA0: DD348108 00087706
	s_mov_b64 exec, s[36:37]                                   // 000000007BA8: BEFE0124
	v_mov_b32_e32 v6, v54                                      // 000000007BAC: 7E0C0336
	s_mov_b64 s[60:61], 0                                      // 000000007BB0: BEBC0180
	v_readlane_b32 s82, v3, 8                                  // 000000007BB4: D2890052 00011103
	s_and_b32 s82, s82, 0xffffff                               // 000000007BBC: 8652FF52 00FFFFFF
	s_cmp_lt_u32 s82, s66                                      // 000000007BC4: BF0A4252
	s_cselect_b32 s20, s36, s60                                // 000000007BC8: 85143C24
	v_readlane_b32 s82, v3, 9                                  // 000000007BCC: D2890052 00011303
	s_and_b32 s82, s82, 0xffffff                               // 000000007BD4: 8652FF52 00FFFFFF
	s_cmp_lt_u32 s82, s66                                      // 000000007BDC: BF0A4252
	s_cselect_b32 s21, s36, s60                                // 000000007BE0: 85153C24
	s_mov_b64 exec, s[20:21]                                   // 000000007BE4: BEFE0114
	global_atomic_add_f32 v6, v122, s[8:9] offset:8            // 000000007BE8: DD348008 00087A06
	global_atomic_add_f32 v6, v126, s[8:9] offset:264          // 000000007BF0: DD348108 00087E06
	s_mov_b64 exec, s[36:37]                                   // 000000007BF8: BEFE0124
	v_mov_b32_e32 v6, v55                                      // 000000007BFC: 7E0C0337
	s_mov_b64 s[60:61], 0                                      // 000000007C00: BEBC0180
	v_readlane_b32 s82, v3, 10                                 // 000000007C04: D2890052 00011503
	s_and_b32 s82, s82, 0xffffff                               // 000000007C0C: 8652FF52 00FFFFFF
	s_cmp_lt_u32 s82, s66                                      // 000000007C14: BF0A4252
	s_cselect_b32 s20, s36, s60                                // 000000007C18: 85143C24
	v_readlane_b32 s82, v3, 11                                 // 000000007C1C: D2890052 00011703
	s_and_b32 s82, s82, 0xffffff                               // 000000007C24: 8652FF52 00FFFFFF
	s_cmp_lt_u32 s82, s66                                      // 000000007C2C: BF0A4252
	s_cselect_b32 s21, s36, s60                                // 000000007C30: 85153C24
	s_mov_b64 exec, s[20:21]                                   // 000000007C34: BEFE0114
	global_atomic_add_f32 v6, v123, s[8:9] offset:8            // 000000007C38: DD348008 00087B06
	global_atomic_add_f32 v6, v127, s[8:9] offset:264          // 000000007C40: DD348108 00087F06
	s_mov_b64 exec, s[36:37]                                   // 000000007C48: BEFE0124
	v_mov_b32_e32 v6, v56                                      // 000000007C4C: 7E0C0338
	s_mov_b64 s[60:61], 0                                      // 000000007C50: BEBC0180
	v_readlane_b32 s82, v3, 12                                 // 000000007C54: D2890052 00011903
	s_and_b32 s82, s82, 0xffffff                               // 000000007C5C: 8652FF52 00FFFFFF
	s_cmp_lt_u32 s82, s66                                      // 000000007C64: BF0A4252
	s_cselect_b32 s20, s36, s60                                // 000000007C68: 85143C24
	v_readlane_b32 s82, v3, 13                                 // 000000007C6C: D2890052 00011B03
	s_and_b32 s82, s82, 0xffffff                               // 000000007C74: 8652FF52 00FFFFFF
	s_cmp_lt_u32 s82, s66                                      // 000000007C7C: BF0A4252
	s_cselect_b32 s21, s36, s60                                // 000000007C80: 85153C24
	s_mov_b64 exec, s[20:21]                                   // 000000007C84: BEFE0114
	global_atomic_add_f32 v6, v130, s[8:9] offset:8            // 000000007C88: DD348008 00088206
	global_atomic_add_f32 v6, v134, s[8:9] offset:264          // 000000007C90: DD348108 00088606
	s_mov_b64 exec, s[36:37]                                   // 000000007C98: BEFE0124
	v_mov_b32_e32 v6, v57                                      // 000000007C9C: 7E0C0339
	s_mov_b64 s[60:61], 0                                      // 000000007CA0: BEBC0180
	v_readlane_b32 s82, v3, 14                                 // 000000007CA4: D2890052 00011D03
	s_and_b32 s82, s82, 0xffffff                               // 000000007CAC: 8652FF52 00FFFFFF
	s_cmp_lt_u32 s82, s66                                      // 000000007CB4: BF0A4252
	s_cselect_b32 s20, s36, s60                                // 000000007CB8: 85143C24
	v_readlane_b32 s82, v3, 15                                 // 000000007CBC: D2890052 00011F03
	s_and_b32 s82, s82, 0xffffff                               // 000000007CC4: 8652FF52 00FFFFFF
	s_cmp_lt_u32 s82, s66                                      // 000000007CCC: BF0A4252
	s_cselect_b32 s21, s36, s60                                // 000000007CD0: 85153C24
	s_mov_b64 exec, s[20:21]                                   // 000000007CD4: BEFE0114
	global_atomic_add_f32 v6, v131, s[8:9] offset:8            // 000000007CD8: DD348008 00088306
	global_atomic_add_f32 v6, v135, s[8:9] offset:264          // 000000007CE0: DD348108 00088706
	s_mov_b64 exec, s[36:37]                                   // 000000007CE8: BEFE0124
	v_mov_b32_e32 v6, v58                                      // 000000007CEC: 7E0C033A
	s_mov_b64 s[60:61], 0                                      // 000000007CF0: BEBC0180
	v_readlane_b32 s82, v3, 16                                 // 000000007CF4: D2890052 00012103
	s_and_b32 s82, s82, 0xffffff                               // 000000007CFC: 8652FF52 00FFFFFF
	s_cmp_lt_u32 s82, s66                                      // 000000007D04: BF0A4252
	s_cselect_b32 s20, s36, s60                                // 000000007D08: 85143C24
	v_readlane_b32 s82, v3, 17                                 // 000000007D0C: D2890052 00012303
	s_and_b32 s82, s82, 0xffffff                               // 000000007D14: 8652FF52 00FFFFFF
	s_cmp_lt_u32 s82, s66                                      // 000000007D1C: BF0A4252
	s_cselect_b32 s21, s36, s60                                // 000000007D20: 85153C24
	s_mov_b64 exec, s[20:21]                                   // 000000007D24: BEFE0114
	global_atomic_add_f32 v6, v138, s[8:9] offset:8            // 000000007D28: DD348008 00088A06
	global_atomic_add_f32 v6, v142, s[8:9] offset:264          // 000000007D30: DD348108 00088E06
	s_mov_b64 exec, s[36:37]                                   // 000000007D38: BEFE0124
	v_mov_b32_e32 v6, v59                                      // 000000007D3C: 7E0C033B
	s_mov_b64 s[60:61], 0                                      // 000000007D40: BEBC0180
	v_readlane_b32 s82, v3, 18                                 // 000000007D44: D2890052 00012503
	s_and_b32 s82, s82, 0xffffff                               // 000000007D4C: 8652FF52 00FFFFFF
	s_cmp_lt_u32 s82, s66                                      // 000000007D54: BF0A4252
	s_cselect_b32 s20, s36, s60                                // 000000007D58: 85143C24
	v_readlane_b32 s82, v3, 19                                 // 000000007D5C: D2890052 00012703
	s_and_b32 s82, s82, 0xffffff                               // 000000007D64: 8652FF52 00FFFFFF
	s_cmp_lt_u32 s82, s66                                      // 000000007D6C: BF0A4252
	s_cselect_b32 s21, s36, s60                                // 000000007D70: 85153C24
	s_mov_b64 exec, s[20:21]                                   // 000000007D74: BEFE0114
	global_atomic_add_f32 v6, v139, s[8:9] offset:8            // 000000007D78: DD348008 00088B06
	global_atomic_add_f32 v6, v143, s[8:9] offset:264          // 000000007D80: DD348108 00088F06
	s_mov_b64 exec, s[36:37]                                   // 000000007D88: BEFE0124
	s_branch label_26FA                                        // 000000007D8C: BF821213

0000000000007d90 <label_14E7>:
	s_waitcnt vmcnt(14) lgkmcnt(0)                             // 000000007D90: BF8C007E
	v_mfma_f32_16x16x32_fp8_fp8 v[64:67], a[80:81], a[0:1], v[64:67]// 000000007D94: D3F30040 1D020150
	buffer_load_dwordx4 a[112:115], v60, s[24:27], 0 offen     // 000000007D9C: E05C1000 8086703C
	v_mfma_f32_16x16x32_fp8_fp8 v[64:67], a[82:83], a[2:3], v[64:67]// 000000007DA4: D3F30040 1D020552
	v_mfma_f32_16x16x32_fp8_fp8 v[64:67], a[84:85], a[4:5], v[64:67]// 000000007DAC: D3F30040 1D020954
	v_mfma_f32_16x16x32_fp8_fp8 v[64:67], a[86:87], a[6:7], v[64:67]// 000000007DB4: D3F30040 1D020D56
	v_mfma_f32_16x16x32_fp8_fp8 v[84:87], a[88:89], a[0:1], v[84:87]// 000000007DBC: D3F30054 1D520158
	buffer_load_dwordx4 a[116:119], v60, s[24:27], 0 offen offset:1024// 000000007DC4: E05C1400 8086743C
	v_mfma_f32_16x16x32_fp8_fp8 v[84:87], a[90:91], a[2:3], v[84:87]// 000000007DCC: D3F30054 1D52055A
	v_mfma_f32_16x16x32_fp8_fp8 v[84:87], a[92:93], a[4:5], v[84:87]// 000000007DD4: D3F30054 1D52095C
	v_mfma_f32_16x16x32_fp8_fp8 v[84:87], a[94:95], a[6:7], v[84:87]// 000000007DDC: D3F30054 1D520D5E
	v_mfma_f32_16x16x32_fp8_fp8 v[68:71], a[80:81], a[8:9], v[68:71]// 000000007DE4: D3F30044 1D121150
	buffer_load_dwordx4 a[120:123], v61, s[24:27], 0 offen     // 000000007DEC: E05C1000 8086783D
	v_mfma_f32_16x16x32_fp8_fp8 v[68:71], a[82:83], a[10:11], v[68:71]// 000000007DF4: D3F30044 1D121552
	v_mfma_f32_16x16x32_fp8_fp8 v[68:71], a[84:85], a[12:13], v[68:71]// 000000007DFC: D3F30044 1D121954
	v_mfma_f32_16x16x32_fp8_fp8 v[68:71], a[86:87], a[14:15], v[68:71]// 000000007E04: D3F30044 1D121D56
	v_mfma_f32_16x16x32_fp8_fp8 v[88:91], a[88:89], a[8:9], v[88:91]// 000000007E0C: D3F30058 1D621158
	buffer_load_dwordx4 a[124:127], v61, s[24:27], 0 offen offset:1024// 000000007E14: E05C1400 80867C3D
	buffer_load_dword v50, s[20:23], 0 offen lds               // 000000007E1C: E0511000 80050032
	s_add_u32 m0, 0x100, s50                                   // 000000007E24: 807C32FF 00000100
	v_mfma_f32_16x16x32_fp8_fp8 v[88:91], a[90:91], a[10:11], v[88:91]// 000000007E2C: D3F30058 1D62155A
	v_mfma_f32_16x16x32_fp8_fp8 v[88:91], a[92:93], a[12:13], v[88:91]// 000000007E34: D3F30058 1D62195C
	buffer_load_dword v51, s[20:23], 0 offen lds               // 000000007E3C: E0511000 80050033
	s_add_u32 m0, 0x200, s50                                   // 000000007E44: 807C32FF 00000200
	v_mfma_f32_16x16x32_fp8_fp8 v[88:91], a[94:95], a[14:15], v[88:91]// 000000007E4C: D3F30058 1D621D5E
	v_mfma_f32_16x16x32_fp8_fp8 v[72:75], a[80:81], a[16:17], v[72:75]// 000000007E54: D3F30048 1D222150
	buffer_load_dword v52, s[20:23], 0 offen lds               // 000000007E5C: E0511000 80050034
	s_add_u32 m0, 0x300, s50                                   // 000000007E64: 807C32FF 00000300
	v_mfma_f32_16x16x32_fp8_fp8 v[72:75], a[82:83], a[18:19], v[72:75]// 000000007E6C: D3F30048 1D222552
	v_mfma_f32_16x16x32_fp8_fp8 v[72:75], a[84:85], a[20:21], v[72:75]// 000000007E74: D3F30048 1D222954
	buffer_load_dword v53, s[20:23], 0 offen lds               // 000000007E7C: E0511000 80050035
	s_add_u32 m0, 0x400, s50                                   // 000000007E84: 807C32FF 00000400
	v_mfma_f32_16x16x32_fp8_fp8 v[72:75], a[86:87], a[22:23], v[72:75]// 000000007E8C: D3F30048 1D222D56
	v_mfma_f32_16x16x32_fp8_fp8 v[92:95], a[88:89], a[16:17], v[92:95]// 000000007E94: D3F3005C 1D722158
	buffer_load_dword v54, s[20:23], 0 offen lds               // 000000007E9C: E0511000 80050036
	s_add_u32 m0, 0x500, s50                                   // 000000007EA4: 807C32FF 00000500
	v_mfma_f32_16x16x32_fp8_fp8 v[92:95], a[90:91], a[18:19], v[92:95]// 000000007EAC: D3F3005C 1D72255A
	v_mfma_f32_16x16x32_fp8_fp8 v[92:95], a[92:93], a[20:21], v[92:95]// 000000007EB4: D3F3005C 1D72295C
	buffer_load_dword v55, s[20:23], 0 offen lds               // 000000007EBC: E0511000 80050037
	s_add_u32 m0, 0x600, s50                                   // 000000007EC4: 807C32FF 00000600
	v_mfma_f32_16x16x32_fp8_fp8 v[92:95], a[94:95], a[22:23], v[92:95]// 000000007ECC: D3F3005C 1D722D5E
	v_mfma_f32_16x16x32_fp8_fp8 v[76:79], a[80:81], a[24:25], v[76:79]// 000000007ED4: D3F3004C 1D323150
	buffer_load_dword v56, s[20:23], 0 offen lds               // 000000007EDC: E0511000 80050038
	s_add_u32 m0, 0x700, s50                                   // 000000007EE4: 807C32FF 00000700
	v_mfma_f32_16x16x32_fp8_fp8 v[76:79], a[82:83], a[26:27], v[76:79]// 000000007EEC: D3F3004C 1D323552
	v_mfma_f32_16x16x32_fp8_fp8 v[76:79], a[84:85], a[28:29], v[76:79]// 000000007EF4: D3F3004C 1D323954
	buffer_load_dword v57, s[20:23], 0 offen lds               // 000000007EFC: E0511000 80050039
	s_add_u32 m0, 0x800, s50                                   // 000000007F04: 807C32FF 00000800
	v_mfma_f32_16x16x32_fp8_fp8 v[76:79], a[86:87], a[30:31], v[76:79]// 000000007F0C: D3F3004C 1D323D56
	v_mfma_f32_16x16x32_fp8_fp8 v[96:99], a[88:89], a[24:25], v[96:99]// 000000007F14: D3F30060 1D823158
	buffer_load_dword v58, s[20:23], 0 offen lds               // 000000007F1C: E0511000 8005003A
	s_add_u32 m0, 0x900, s50                                   // 000000007F24: 807C32FF 00000900
	v_mfma_f32_16x16x32_fp8_fp8 v[96:99], a[90:91], a[26:27], v[96:99]// 000000007F2C: D3F30060 1D82355A
	v_mfma_f32_16x16x32_fp8_fp8 v[96:99], a[92:93], a[28:29], v[96:99]// 000000007F34: D3F30060 1D82395C
	buffer_load_dword v59, s[20:23], 0 offen lds               // 000000007F3C: E0511000 8005003B
	s_add_u32 m0, 0, s48                                       // 000000007F44: 807C3080
	v_mfma_f32_16x16x32_fp8_fp8 v[96:99], a[94:95], a[30:31], v[96:99]// 000000007F48: D3F30060 1D823D5E
	v_mfma_f32_16x16x32_fp8_fp8 v[80:83], a[80:81], a[32:33], v[80:83]// 000000007F50: D3F30050 1D424150
	v_mfma_f32_16x16x32_fp8_fp8 v[80:83], a[82:83], a[34:35], v[80:83]// 000000007F58: D3F30050 1D424552
	v_mfma_f32_16x16x32_fp8_fp8 v[80:83], a[84:85], a[36:37], v[80:83]// 000000007F60: D3F30050 1D424954
	v_mfma_f32_16x16x32_fp8_fp8 v[80:83], a[86:87], a[38:39], v[80:83]// 000000007F68: D3F30050 1D424D56
	v_mfma_f32_16x16x32_fp8_fp8 v[100:103], a[88:89], a[32:33], v[100:103]// 000000007F70: D3F30064 1D924158
	v_mfma_f32_16x16x32_fp8_fp8 v[100:103], a[90:91], a[34:35], v[100:103]// 000000007F78: D3F30064 1D92455A
	v_mfma_f32_16x16x32_fp8_fp8 v[100:103], a[92:93], a[36:37], v[100:103]// 000000007F80: D3F30064 1D92495C
	v_mfma_f32_16x16x32_fp8_fp8 v[100:103], a[94:95], a[38:39], v[100:103]// 000000007F88: D3F30064 1D924D5E
	s_waitcnt vmcnt(14)                                        // 000000007F90: BF8C0F7E
	s_barrier                                                  // 000000007F94: BF8A0000
	v_mfma_f32_16x16x32_fp8_fp8 v[104:107], a[96:97], a[0:1], v[104:107]// 000000007F98: D3F30068 1DA20160
	buffer_load_dwordx4 a[80:83], v60, s[84:87], 0 offen       // 000000007FA0: E05C1000 8095503C
	v_mfma_f32_16x16x32_fp8_fp8 v[104:107], a[98:99], a[2:3], v[104:107]// 000000007FA8: D3F30068 1DA20562
	v_mfma_f32_16x16x32_fp8_fp8 v[104:107], a[100:101], a[4:5], v[104:107]// 000000007FB0: D3F30068 1DA20964
	ds_read_b128 a[40:43], v2 offset:10368                     // 000000007FB8: DBFE2880 28000002
	ds_read_b128 a[44:47], v2 offset:10432                     // 000000007FC0: DBFE28C0 2C000002
	v_mfma_f32_16x16x32_fp8_fp8 v[104:107], a[102:103], a[6:7], v[104:107]// 000000007FC8: D3F30068 1DA20D66
	v_mfma_f32_16x16x32_fp8_fp8 v[124:127], a[104:105], a[0:1], v[124:127]// 000000007FD0: D3F3007C 1DF20168
	buffer_load_dwordx4 a[84:87], v60, s[84:87], 0 offen offset:1024// 000000007FD8: E05C1400 8095543C
	v_mfma_f32_16x16x32_fp8_fp8 v[124:127], a[106:107], a[2:3], v[124:127]// 000000007FE0: D3F3007C 1DF2056A
	v_mfma_f32_16x16x32_fp8_fp8 v[124:127], a[108:109], a[4:5], v[124:127]// 000000007FE8: D3F3007C 1DF2096C
	ds_read_b128 a[48:51], v2 offset:10880                     // 000000007FF0: DBFE2A80 30000002
	ds_read_b128 a[52:55], v2 offset:10944                     // 000000007FF8: DBFE2AC0 34000002
	v_mfma_f32_16x16x32_fp8_fp8 v[124:127], a[110:111], a[6:7], v[124:127]// 000000008000: D3F3007C 1DF20D6E
	v_mfma_f32_16x16x32_fp8_fp8 v[108:111], a[96:97], a[8:9], v[108:111]// 000000008008: D3F3006C 1DB21160
	buffer_load_dwordx4 a[88:91], v61, s[84:87], 0 offen       // 000000008010: E05C1000 8095583D
	v_mfma_f32_16x16x32_fp8_fp8 v[108:111], a[98:99], a[10:11], v[108:111]// 000000008018: D3F3006C 1DB21562
	v_mfma_f32_16x16x32_fp8_fp8 v[108:111], a[100:101], a[12:13], v[108:111]// 000000008020: D3F3006C 1DB21964
	ds_read_b128 a[56:59], v2 offset:11392                     // 000000008028: DBFE2C80 38000002
	ds_read_b128 a[60:63], v2 offset:11456                     // 000000008030: DBFE2CC0 3C000002
	v_mfma_f32_16x16x32_fp8_fp8 v[108:111], a[102:103], a[14:15], v[108:111]// 000000008038: D3F3006C 1DB21D66
	v_mfma_f32_16x16x32_fp8_fp8 v[128:131], a[104:105], a[8:9], v[128:131]// 000000008040: D3F30080 1E021168
	buffer_load_dwordx4 a[92:95], v61, s[84:87], 0 offen offset:1024// 000000008048: E05C1400 80955C3D
	v_mfma_f32_16x16x32_fp8_fp8 v[128:131], a[106:107], a[10:11], v[128:131]// 000000008050: D3F30080 1E02156A
	v_mfma_f32_16x16x32_fp8_fp8 v[128:131], a[108:109], a[12:13], v[128:131]// 000000008058: D3F30080 1E02196C
	ds_read_b128 a[64:67], v2 offset:11904                     // 000000008060: DBFE2E80 40000002
	ds_read_b128 a[68:71], v2 offset:11968                     // 000000008068: DBFE2EC0 44000002
	v_mfma_f32_16x16x32_fp8_fp8 v[128:131], a[110:111], a[14:15], v[128:131]// 000000008070: D3F30080 1E021D6E
	v_mfma_f32_16x16x32_fp8_fp8 v[112:115], a[96:97], a[16:17], v[112:115]// 000000008078: D3F30070 1DC22160
	v_mfma_f32_16x16x32_fp8_fp8 v[112:115], a[98:99], a[18:19], v[112:115]// 000000008080: D3F30070 1DC22562
	v_mfma_f32_16x16x32_fp8_fp8 v[112:115], a[100:101], a[20:21], v[112:115]// 000000008088: D3F30070 1DC22964
	ds_read_b128 a[72:75], v2 offset:12416                     // 000000008090: DBFE3080 48000002
	ds_read_b128 a[76:79], v2 offset:12480                     // 000000008098: DBFE30C0 4C000002
	v_mfma_f32_16x16x32_fp8_fp8 v[112:115], a[102:103], a[22:23], v[112:115]// 0000000080A0: D3F30070 1DC22D66
	v_mfma_f32_16x16x32_fp8_fp8 v[132:135], a[104:105], a[16:17], v[132:135]// 0000000080A8: D3F30084 1E122168
	v_mfma_f32_16x16x32_fp8_fp8 v[132:135], a[106:107], a[18:19], v[132:135]// 0000000080B0: D3F30084 1E12256A
	v_mfma_f32_16x16x32_fp8_fp8 v[132:135], a[108:109], a[20:21], v[132:135]// 0000000080B8: D3F30084 1E12296C
	v_mfma_f32_16x16x32_fp8_fp8 v[132:135], a[110:111], a[22:23], v[132:135]// 0000000080C0: D3F30084 1E122D6E
	v_mfma_f32_16x16x32_fp8_fp8 v[116:119], a[96:97], a[24:25], v[116:119]// 0000000080C8: D3F30074 1DD23160
	v_mfma_f32_16x16x32_fp8_fp8 v[116:119], a[98:99], a[26:27], v[116:119]// 0000000080D0: D3F30074 1DD23562
	v_mfma_f32_16x16x32_fp8_fp8 v[116:119], a[100:101], a[28:29], v[116:119]// 0000000080D8: D3F30074 1DD23964
	v_mfma_f32_16x16x32_fp8_fp8 v[116:119], a[102:103], a[30:31], v[116:119]// 0000000080E0: D3F30074 1DD23D66
	v_mfma_f32_16x16x32_fp8_fp8 v[136:139], a[104:105], a[24:25], v[136:139]// 0000000080E8: D3F30088 1E223168
	v_mfma_f32_16x16x32_fp8_fp8 v[136:139], a[106:107], a[26:27], v[136:139]// 0000000080F0: D3F30088 1E22356A
	v_mfma_f32_16x16x32_fp8_fp8 v[136:139], a[108:109], a[28:29], v[136:139]// 0000000080F8: D3F30088 1E22396C
	v_mfma_f32_16x16x32_fp8_fp8 v[136:139], a[110:111], a[30:31], v[136:139]// 000000008100: D3F30088 1E223D6E
	v_mfma_f32_16x16x32_fp8_fp8 v[120:123], a[96:97], a[32:33], v[120:123]// 000000008108: D3F30078 1DE24160
	s_add_u32 s60, 0x180, s80                                  // 000000008110: 803C50FF 00000180
	s_cmp_lt_u32 s60, s81                                      // 000000008118: BF0A513C
	s_cselect_b32 s57, s57, 0                                  // 00000000811C: 85398039
	v_mfma_f32_16x16x32_fp8_fp8 v[120:123], a[98:99], a[34:35], v[120:123]// 000000008120: D3F30078 1DE24562
	s_add_u32 s60, 0x100, s80                                  // 000000008128: 803C50FF 00000100
	s_cmp_lt_u32 s60, s81                                      // 000000008130: BF0A513C
	s_cselect_b32 s58, s58, 0                                  // 000000008134: 853A803A
	v_mfma_f32_16x16x32_fp8_fp8 v[120:123], a[100:101], a[36:37], v[120:123]// 000000008138: D3F30078 1DE24964
	s_add_u32 s60, 0x100, s80                                  // 000000008140: 803C50FF 00000100
	s_cmp_lt_u32 s60, s81                                      // 000000008148: BF0A513C
	s_cselect_b32 s83, s83, 0                                  // 00000000814C: 85538053
	v_mfma_f32_16x16x32_fp8_fp8 v[120:123], a[102:103], a[38:39], v[120:123]// 000000008150: D3F30078 1DE24D66
	s_add_u32 s24, s58, s24                                    // 000000008158: 8018183A
	s_addc_u32 s25, 0, s25                                     // 00000000815C: 82191980
	v_mfma_f32_16x16x32_fp8_fp8 v[140:143], a[104:105], a[32:33], v[140:143]// 000000008160: D3F3008C 1E324168
	s_add_u32 s20, s57, s20                                    // 000000008168: 80141439
	s_addc_u32 s21, 0, s21                                     // 00000000816C: 82151580
	v_mfma_f32_16x16x32_fp8_fp8 v[140:143], a[106:107], a[34:35], v[140:143]// 000000008170: D3F3008C 1E32456A
	s_add_u32 s84, s83, s84                                    // 000000008178: 80545453
	s_addc_u32 s85, 0, s85                                     // 00000000817C: 82555580
	v_mfma_f32_16x16x32_fp8_fp8 v[140:143], a[108:109], a[36:37], v[140:143]// 000000008180: D3F3008C 1E32496C
	v_mfma_f32_16x16x32_fp8_fp8 v[140:143], a[110:111], a[38:39], v[140:143]// 000000008188: D3F3008C 1E324D6E
	s_addk_i32 s80, 0x80                                       // 000000008190: B7500080
	s_cmp_lt_i32 s80, s81                                      // 000000008194: BF045150
	s_cbranch_scc0 label_1AFA                                  // 000000008198: BF840510
	s_waitcnt vmcnt(14) lgkmcnt(0)                             // 00000000819C: BF8C007E
	v_mfma_f32_16x16x32_fp8_fp8 v[64:67], a[112:113], a[40:41], v[64:67]// 0000000081A0: D3F30040 1D025170
	buffer_load_dwordx4 a[96:99], v60, s[24:27], 0 offen       // 0000000081A8: E05C1000 8086603C
	v_mfma_f32_16x16x32_fp8_fp8 v[64:67], a[114:115], a[42:43], v[64:67]// 0000000081B0: D3F30040 1D025572
	v_mfma_f32_16x16x32_fp8_fp8 v[64:67], a[116:117], a[44:45], v[64:67]// 0000000081B8: D3F30040 1D025974
	v_mfma_f32_16x16x32_fp8_fp8 v[64:67], a[118:119], a[46:47], v[64:67]// 0000000081C0: D3F30040 1D025D76
	v_mfma_f32_16x16x32_fp8_fp8 v[84:87], a[120:121], a[40:41], v[84:87]// 0000000081C8: D3F30054 1D525178
	buffer_load_dwordx4 a[100:103], v60, s[24:27], 0 offen offset:1024// 0000000081D0: E05C1400 8086643C
	v_mfma_f32_16x16x32_fp8_fp8 v[84:87], a[122:123], a[42:43], v[84:87]// 0000000081D8: D3F30054 1D52557A
	v_mfma_f32_16x16x32_fp8_fp8 v[84:87], a[124:125], a[44:45], v[84:87]// 0000000081E0: D3F30054 1D52597C
	v_mfma_f32_16x16x32_fp8_fp8 v[84:87], a[126:127], a[46:47], v[84:87]// 0000000081E8: D3F30054 1D525D7E
	v_mfma_f32_16x16x32_fp8_fp8 v[68:71], a[112:113], a[48:49], v[68:71]// 0000000081F0: D3F30044 1D126170
	buffer_load_dwordx4 a[104:107], v61, s[24:27], 0 offen     // 0000000081F8: E05C1000 8086683D
	v_mfma_f32_16x16x32_fp8_fp8 v[68:71], a[114:115], a[50:51], v[68:71]// 000000008200: D3F30044 1D126572
	v_mfma_f32_16x16x32_fp8_fp8 v[68:71], a[116:117], a[52:53], v[68:71]// 000000008208: D3F30044 1D126974
	v_mfma_f32_16x16x32_fp8_fp8 v[68:71], a[118:119], a[54:55], v[68:71]// 000000008210: D3F30044 1D126D76
	v_mfma_f32_16x16x32_fp8_fp8 v[88:91], a[120:121], a[48:49], v[88:91]// 000000008218: D3F30058 1D626178
	buffer_load_dwordx4 a[108:111], v61, s[24:27], 0 offen offset:1024// 000000008220: E05C1400 80866C3D
	buffer_load_dword v50, s[20:23], 0 offen lds               // 000000008228: E0511000 80050032
	s_add_u32 m0, 0x100, s48                                   // 000000008230: 807C30FF 00000100
	v_mfma_f32_16x16x32_fp8_fp8 v[88:91], a[122:123], a[50:51], v[88:91]// 000000008238: D3F30058 1D62657A
	v_mfma_f32_16x16x32_fp8_fp8 v[88:91], a[124:125], a[52:53], v[88:91]// 000000008240: D3F30058 1D62697C
	buffer_load_dword v51, s[20:23], 0 offen lds               // 000000008248: E0511000 80050033
	s_add_u32 m0, 0x200, s48                                   // 000000008250: 807C30FF 00000200
	v_mfma_f32_16x16x32_fp8_fp8 v[88:91], a[126:127], a[54:55], v[88:91]// 000000008258: D3F30058 1D626D7E
	v_mfma_f32_16x16x32_fp8_fp8 v[72:75], a[112:113], a[56:57], v[72:75]// 000000008260: D3F30048 1D227170
	buffer_load_dword v52, s[20:23], 0 offen lds               // 000000008268: E0511000 80050034
	s_add_u32 m0, 0x300, s48                                   // 000000008270: 807C30FF 00000300
	v_mfma_f32_16x16x32_fp8_fp8 v[72:75], a[114:115], a[58:59], v[72:75]// 000000008278: D3F30048 1D227572
	v_mfma_f32_16x16x32_fp8_fp8 v[72:75], a[116:117], a[60:61], v[72:75]// 000000008280: D3F30048 1D227974
	buffer_load_dword v53, s[20:23], 0 offen lds               // 000000008288: E0511000 80050035
	s_add_u32 m0, 0x400, s48                                   // 000000008290: 807C30FF 00000400
	v_mfma_f32_16x16x32_fp8_fp8 v[72:75], a[118:119], a[62:63], v[72:75]// 000000008298: D3F30048 1D227D76
	v_mfma_f32_16x16x32_fp8_fp8 v[92:95], a[120:121], a[56:57], v[92:95]// 0000000082A0: D3F3005C 1D727178
	buffer_load_dword v54, s[20:23], 0 offen lds               // 0000000082A8: E0511000 80050036
	s_add_u32 m0, 0x500, s48                                   // 0000000082B0: 807C30FF 00000500
	v_mfma_f32_16x16x32_fp8_fp8 v[92:95], a[122:123], a[58:59], v[92:95]// 0000000082B8: D3F3005C 1D72757A
	v_mfma_f32_16x16x32_fp8_fp8 v[92:95], a[124:125], a[60:61], v[92:95]// 0000000082C0: D3F3005C 1D72797C
	buffer_load_dword v55, s[20:23], 0 offen lds               // 0000000082C8: E0511000 80050037
	s_add_u32 m0, 0x600, s48                                   // 0000000082D0: 807C30FF 00000600
	v_mfma_f32_16x16x32_fp8_fp8 v[92:95], a[126:127], a[62:63], v[92:95]// 0000000082D8: D3F3005C 1D727D7E
	v_mfma_f32_16x16x32_fp8_fp8 v[76:79], a[112:113], a[64:65], v[76:79]// 0000000082E0: D3F3004C 1D328170
	buffer_load_dword v56, s[20:23], 0 offen lds               // 0000000082E8: E0511000 80050038
	s_add_u32 m0, 0x700, s48                                   // 0000000082F0: 807C30FF 00000700
	v_mfma_f32_16x16x32_fp8_fp8 v[76:79], a[114:115], a[66:67], v[76:79]// 0000000082F8: D3F3004C 1D328572
	v_mfma_f32_16x16x32_fp8_fp8 v[76:79], a[116:117], a[68:69], v[76:79]// 000000008300: D3F3004C 1D328974
	buffer_load_dword v57, s[20:23], 0 offen lds               // 000000008308: E0511000 80050039
	s_add_u32 m0, 0x800, s48                                   // 000000008310: 807C30FF 00000800
	v_mfma_f32_16x16x32_fp8_fp8 v[76:79], a[118:119], a[70:71], v[76:79]// 000000008318: D3F3004C 1D328D76
	v_mfma_f32_16x16x32_fp8_fp8 v[96:99], a[120:121], a[64:65], v[96:99]// 000000008320: D3F30060 1D828178
	buffer_load_dword v58, s[20:23], 0 offen lds               // 000000008328: E0511000 8005003A
	s_add_u32 m0, 0x900, s48                                   // 000000008330: 807C30FF 00000900
	v_mfma_f32_16x16x32_fp8_fp8 v[96:99], a[122:123], a[66:67], v[96:99]// 000000008338: D3F30060 1D82857A
	v_mfma_f32_16x16x32_fp8_fp8 v[96:99], a[124:125], a[68:69], v[96:99]// 000000008340: D3F30060 1D82897C
	buffer_load_dword v59, s[20:23], 0 offen lds               // 000000008348: E0511000 8005003B
	s_add_u32 m0, 0, s49                                       // 000000008350: 807C3180
	v_mfma_f32_16x16x32_fp8_fp8 v[96:99], a[126:127], a[70:71], v[96:99]// 000000008354: D3F30060 1D828D7E
	v_mfma_f32_16x16x32_fp8_fp8 v[80:83], a[112:113], a[72:73], v[80:83]// 00000000835C: D3F30050 1D429170
	v_mfma_f32_16x16x32_fp8_fp8 v[80:83], a[114:115], a[74:75], v[80:83]// 000000008364: D3F30050 1D429572
	v_mfma_f32_16x16x32_fp8_fp8 v[80:83], a[116:117], a[76:77], v[80:83]// 00000000836C: D3F30050 1D429974
	v_mfma_f32_16x16x32_fp8_fp8 v[80:83], a[118:119], a[78:79], v[80:83]// 000000008374: D3F30050 1D429D76
	v_mfma_f32_16x16x32_fp8_fp8 v[100:103], a[120:121], a[72:73], v[100:103]// 00000000837C: D3F30064 1D929178
	v_mfma_f32_16x16x32_fp8_fp8 v[100:103], a[122:123], a[74:75], v[100:103]// 000000008384: D3F30064 1D92957A
	v_mfma_f32_16x16x32_fp8_fp8 v[100:103], a[124:125], a[76:77], v[100:103]// 00000000838C: D3F30064 1D92997C
	v_mfma_f32_16x16x32_fp8_fp8 v[100:103], a[126:127], a[78:79], v[100:103]// 000000008394: D3F30064 1D929D7E
	s_waitcnt vmcnt(14)                                        // 00000000839C: BF8C0F7E
	s_barrier                                                  // 0000000083A0: BF8A0000
	v_mfma_f32_16x16x32_fp8_fp8 v[104:107], a[80:81], a[40:41], v[104:107]// 0000000083A4: D3F30068 1DA25150
	buffer_load_dwordx4 a[112:115], v60, s[84:87], 0 offen     // 0000000083AC: E05C1000 8095703C
	v_mfma_f32_16x16x32_fp8_fp8 v[104:107], a[82:83], a[42:43], v[104:107]// 0000000083B4: D3F30068 1DA25552
	v_mfma_f32_16x16x32_fp8_fp8 v[104:107], a[84:85], a[44:45], v[104:107]// 0000000083BC: D3F30068 1DA25954
	ds_read_b128 a[0:3], v2 offset:20736                       // 0000000083C4: DBFE5100 00000002
	ds_read_b128 a[4:7], v2 offset:20800                       // 0000000083CC: DBFE5140 04000002
	v_mfma_f32_16x16x32_fp8_fp8 v[104:107], a[86:87], a[46:47], v[104:107]// 0000000083D4: D3F30068 1DA25D56
	v_mfma_f32_16x16x32_fp8_fp8 v[124:127], a[88:89], a[40:41], v[124:127]// 0000000083DC: D3F3007C 1DF25158
	buffer_load_dwordx4 a[116:119], v60, s[84:87], 0 offen offset:1024// 0000000083E4: E05C1400 8095743C
	v_mfma_f32_16x16x32_fp8_fp8 v[124:127], a[90:91], a[42:43], v[124:127]// 0000000083EC: D3F3007C 1DF2555A
	v_mfma_f32_16x16x32_fp8_fp8 v[124:127], a[92:93], a[44:45], v[124:127]// 0000000083F4: D3F3007C 1DF2595C
	ds_read_b128 a[8:11], v2 offset:21248                      // 0000000083FC: DBFE5300 08000002
	ds_read_b128 a[12:15], v2 offset:21312                     // 000000008404: DBFE5340 0C000002
	v_mfma_f32_16x16x32_fp8_fp8 v[124:127], a[94:95], a[46:47], v[124:127]// 00000000840C: D3F3007C 1DF25D5E
	v_mfma_f32_16x16x32_fp8_fp8 v[108:111], a[80:81], a[48:49], v[108:111]// 000000008414: D3F3006C 1DB26150
	buffer_load_dwordx4 a[120:123], v61, s[84:87], 0 offen     // 00000000841C: E05C1000 8095783D
	v_mfma_f32_16x16x32_fp8_fp8 v[108:111], a[82:83], a[50:51], v[108:111]// 000000008424: D3F3006C 1DB26552
	v_mfma_f32_16x16x32_fp8_fp8 v[108:111], a[84:85], a[52:53], v[108:111]// 00000000842C: D3F3006C 1DB26954
	ds_read_b128 a[16:19], v2 offset:21760                     // 000000008434: DBFE5500 10000002
	ds_read_b128 a[20:23], v2 offset:21824                     // 00000000843C: DBFE5540 14000002
	v_mfma_f32_16x16x32_fp8_fp8 v[108:111], a[86:87], a[54:55], v[108:111]// 000000008444: D3F3006C 1DB26D56
	v_mfma_f32_16x16x32_fp8_fp8 v[128:131], a[88:89], a[48:49], v[128:131]// 00000000844C: D3F30080 1E026158
	buffer_load_dwordx4 a[124:127], v61, s[84:87], 0 offen offset:1024// 000000008454: E05C1400 80957C3D
	v_mfma_f32_16x16x32_fp8_fp8 v[128:131], a[90:91], a[50:51], v[128:131]// 00000000845C: D3F30080 1E02655A
	v_mfma_f32_16x16x32_fp8_fp8 v[128:131], a[92:93], a[52:53], v[128:131]// 000000008464: D3F30080 1E02695C
	ds_read_b128 a[24:27], v2 offset:22272                     // 00000000846C: DBFE5700 18000002
	ds_read_b128 a[28:31], v2 offset:22336                     // 000000008474: DBFE5740 1C000002
	v_mfma_f32_16x16x32_fp8_fp8 v[128:131], a[94:95], a[54:55], v[128:131]// 00000000847C: D3F30080 1E026D5E
	v_mfma_f32_16x16x32_fp8_fp8 v[112:115], a[80:81], a[56:57], v[112:115]// 000000008484: D3F30070 1DC27150
	v_mfma_f32_16x16x32_fp8_fp8 v[112:115], a[82:83], a[58:59], v[112:115]// 00000000848C: D3F30070 1DC27552
	v_mfma_f32_16x16x32_fp8_fp8 v[112:115], a[84:85], a[60:61], v[112:115]// 000000008494: D3F30070 1DC27954
	ds_read_b128 a[32:35], v2 offset:22784                     // 00000000849C: DBFE5900 20000002
	ds_read_b128 a[36:39], v2 offset:22848                     // 0000000084A4: DBFE5940 24000002
	v_mfma_f32_16x16x32_fp8_fp8 v[112:115], a[86:87], a[62:63], v[112:115]// 0000000084AC: D3F30070 1DC27D56
	v_mfma_f32_16x16x32_fp8_fp8 v[132:135], a[88:89], a[56:57], v[132:135]// 0000000084B4: D3F30084 1E127158
	v_mfma_f32_16x16x32_fp8_fp8 v[132:135], a[90:91], a[58:59], v[132:135]// 0000000084BC: D3F30084 1E12755A
	v_mfma_f32_16x16x32_fp8_fp8 v[132:135], a[92:93], a[60:61], v[132:135]// 0000000084C4: D3F30084 1E12795C
	v_mfma_f32_16x16x32_fp8_fp8 v[132:135], a[94:95], a[62:63], v[132:135]// 0000000084CC: D3F30084 1E127D5E
	v_mfma_f32_16x16x32_fp8_fp8 v[116:119], a[80:81], a[64:65], v[116:119]// 0000000084D4: D3F30074 1DD28150
	v_mfma_f32_16x16x32_fp8_fp8 v[116:119], a[82:83], a[66:67], v[116:119]// 0000000084DC: D3F30074 1DD28552
	v_mfma_f32_16x16x32_fp8_fp8 v[116:119], a[84:85], a[68:69], v[116:119]// 0000000084E4: D3F30074 1DD28954
	v_mfma_f32_16x16x32_fp8_fp8 v[116:119], a[86:87], a[70:71], v[116:119]// 0000000084EC: D3F30074 1DD28D56
	v_mfma_f32_16x16x32_fp8_fp8 v[136:139], a[88:89], a[64:65], v[136:139]// 0000000084F4: D3F30088 1E228158
	v_mfma_f32_16x16x32_fp8_fp8 v[136:139], a[90:91], a[66:67], v[136:139]// 0000000084FC: D3F30088 1E22855A
	v_mfma_f32_16x16x32_fp8_fp8 v[136:139], a[92:93], a[68:69], v[136:139]// 000000008504: D3F30088 1E22895C
	v_mfma_f32_16x16x32_fp8_fp8 v[136:139], a[94:95], a[70:71], v[136:139]// 00000000850C: D3F30088 1E228D5E
	v_mfma_f32_16x16x32_fp8_fp8 v[120:123], a[80:81], a[72:73], v[120:123]// 000000008514: D3F30078 1DE29150
	s_add_u32 s60, 0x180, s80                                  // 00000000851C: 803C50FF 00000180
	s_cmp_lt_u32 s60, s81                                      // 000000008524: BF0A513C
	s_cselect_b32 s57, s57, 0                                  // 000000008528: 85398039
	v_mfma_f32_16x16x32_fp8_fp8 v[120:123], a[82:83], a[74:75], v[120:123]// 00000000852C: D3F30078 1DE29552
	s_add_u32 s60, 0x100, s80                                  // 000000008534: 803C50FF 00000100
	s_cmp_lt_u32 s60, s81                                      // 00000000853C: BF0A513C
	s_cselect_b32 s58, s58, 0                                  // 000000008540: 853A803A
	v_mfma_f32_16x16x32_fp8_fp8 v[120:123], a[84:85], a[76:77], v[120:123]// 000000008544: D3F30078 1DE29954
	s_add_u32 s60, 0x100, s80                                  // 00000000854C: 803C50FF 00000100
	s_cmp_lt_u32 s60, s81                                      // 000000008554: BF0A513C
	s_cselect_b32 s83, s83, 0                                  // 000000008558: 85538053
	v_mfma_f32_16x16x32_fp8_fp8 v[120:123], a[86:87], a[78:79], v[120:123]// 00000000855C: D3F30078 1DE29D56
	s_add_u32 s24, s58, s24                                    // 000000008564: 8018183A
	s_addc_u32 s25, 0, s25                                     // 000000008568: 82191980
	v_mfma_f32_16x16x32_fp8_fp8 v[140:143], a[88:89], a[72:73], v[140:143]// 00000000856C: D3F3008C 1E329158
	s_add_u32 s20, s57, s20                                    // 000000008574: 80141439
	s_addc_u32 s21, 0, s21                                     // 000000008578: 82151580
	v_mfma_f32_16x16x32_fp8_fp8 v[140:143], a[90:91], a[74:75], v[140:143]// 00000000857C: D3F3008C 1E32955A
	s_add_u32 s84, s83, s84                                    // 000000008584: 80545453
	s_addc_u32 s85, 0, s85                                     // 000000008588: 82555580
	v_mfma_f32_16x16x32_fp8_fp8 v[140:143], a[92:93], a[76:77], v[140:143]// 00000000858C: D3F3008C 1E32995C
	v_mfma_f32_16x16x32_fp8_fp8 v[140:143], a[94:95], a[78:79], v[140:143]// 000000008594: D3F3008C 1E329D5E
	s_addk_i32 s80, 0x80                                       // 00000000859C: B7500080
	s_cmp_lt_i32 s80, s81                                      // 0000000085A0: BF045150
	s_cbranch_scc0 label_1AFA                                  // 0000000085A4: BF84040D
	s_waitcnt vmcnt(14) lgkmcnt(0)                             // 0000000085A8: BF8C007E
	v_mfma_f32_16x16x32_fp8_fp8 v[64:67], a[96:97], a[0:1], v[64:67]// 0000000085AC: D3F30040 1D020160
	buffer_load_dwordx4 a[80:83], v60, s[24:27], 0 offen       // 0000000085B4: E05C1000 8086503C
	v_mfma_f32_16x16x32_fp8_fp8 v[64:67], a[98:99], a[2:3], v[64:67]// 0000000085BC: D3F30040 1D020562
	v_mfma_f32_16x16x32_fp8_fp8 v[64:67], a[100:101], a[4:5], v[64:67]// 0000000085C4: D3F30040 1D020964
	v_mfma_f32_16x16x32_fp8_fp8 v[64:67], a[102:103], a[6:7], v[64:67]// 0000000085CC: D3F30040 1D020D66
	v_mfma_f32_16x16x32_fp8_fp8 v[84:87], a[104:105], a[0:1], v[84:87]// 0000000085D4: D3F30054 1D520168
	buffer_load_dwordx4 a[84:87], v60, s[24:27], 0 offen offset:1024// 0000000085DC: E05C1400 8086543C
	v_mfma_f32_16x16x32_fp8_fp8 v[84:87], a[106:107], a[2:3], v[84:87]// 0000000085E4: D3F30054 1D52056A
	v_mfma_f32_16x16x32_fp8_fp8 v[84:87], a[108:109], a[4:5], v[84:87]// 0000000085EC: D3F30054 1D52096C
	v_mfma_f32_16x16x32_fp8_fp8 v[84:87], a[110:111], a[6:7], v[84:87]// 0000000085F4: D3F30054 1D520D6E
	v_mfma_f32_16x16x32_fp8_fp8 v[68:71], a[96:97], a[8:9], v[68:71]// 0000000085FC: D3F30044 1D121160
	buffer_load_dwordx4 a[88:91], v61, s[24:27], 0 offen       // 000000008604: E05C1000 8086583D
	v_mfma_f32_16x16x32_fp8_fp8 v[68:71], a[98:99], a[10:11], v[68:71]// 00000000860C: D3F30044 1D121562
	v_mfma_f32_16x16x32_fp8_fp8 v[68:71], a[100:101], a[12:13], v[68:71]// 000000008614: D3F30044 1D121964
	v_mfma_f32_16x16x32_fp8_fp8 v[68:71], a[102:103], a[14:15], v[68:71]// 00000000861C: D3F30044 1D121D66
	v_mfma_f32_16x16x32_fp8_fp8 v[88:91], a[104:105], a[8:9], v[88:91]// 000000008624: D3F30058 1D621168
	buffer_load_dwordx4 a[92:95], v61, s[24:27], 0 offen offset:1024// 00000000862C: E05C1400 80865C3D
	buffer_load_dword v50, s[20:23], 0 offen lds               // 000000008634: E0511000 80050032
	s_add_u32 m0, 0x100, s49                                   // 00000000863C: 807C31FF 00000100
	v_mfma_f32_16x16x32_fp8_fp8 v[88:91], a[106:107], a[10:11], v[88:91]// 000000008644: D3F30058 1D62156A
	v_mfma_f32_16x16x32_fp8_fp8 v[88:91], a[108:109], a[12:13], v[88:91]// 00000000864C: D3F30058 1D62196C
	buffer_load_dword v51, s[20:23], 0 offen lds               // 000000008654: E0511000 80050033
	s_add_u32 m0, 0x200, s49                                   // 00000000865C: 807C31FF 00000200
	v_mfma_f32_16x16x32_fp8_fp8 v[88:91], a[110:111], a[14:15], v[88:91]// 000000008664: D3F30058 1D621D6E
	v_mfma_f32_16x16x32_fp8_fp8 v[72:75], a[96:97], a[16:17], v[72:75]// 00000000866C: D3F30048 1D222160
	buffer_load_dword v52, s[20:23], 0 offen lds               // 000000008674: E0511000 80050034
	s_add_u32 m0, 0x300, s49                                   // 00000000867C: 807C31FF 00000300
	v_mfma_f32_16x16x32_fp8_fp8 v[72:75], a[98:99], a[18:19], v[72:75]// 000000008684: D3F30048 1D222562
	v_mfma_f32_16x16x32_fp8_fp8 v[72:75], a[100:101], a[20:21], v[72:75]// 00000000868C: D3F30048 1D222964
	buffer_load_dword v53, s[20:23], 0 offen lds               // 000000008694: E0511000 80050035
	s_add_u32 m0, 0x400, s49                                   // 00000000869C: 807C31FF 00000400
	v_mfma_f32_16x16x32_fp8_fp8 v[72:75], a[102:103], a[22:23], v[72:75]// 0000000086A4: D3F30048 1D222D66
	v_mfma_f32_16x16x32_fp8_fp8 v[92:95], a[104:105], a[16:17], v[92:95]// 0000000086AC: D3F3005C 1D722168
	buffer_load_dword v54, s[20:23], 0 offen lds               // 0000000086B4: E0511000 80050036
	s_add_u32 m0, 0x500, s49                                   // 0000000086BC: 807C31FF 00000500
	v_mfma_f32_16x16x32_fp8_fp8 v[92:95], a[106:107], a[18:19], v[92:95]// 0000000086C4: D3F3005C 1D72256A
	v_mfma_f32_16x16x32_fp8_fp8 v[92:95], a[108:109], a[20:21], v[92:95]// 0000000086CC: D3F3005C 1D72296C
	buffer_load_dword v55, s[20:23], 0 offen lds               // 0000000086D4: E0511000 80050037
	s_add_u32 m0, 0x600, s49                                   // 0000000086DC: 807C31FF 00000600
	v_mfma_f32_16x16x32_fp8_fp8 v[92:95], a[110:111], a[22:23], v[92:95]// 0000000086E4: D3F3005C 1D722D6E
	v_mfma_f32_16x16x32_fp8_fp8 v[76:79], a[96:97], a[24:25], v[76:79]// 0000000086EC: D3F3004C 1D323160
	buffer_load_dword v56, s[20:23], 0 offen lds               // 0000000086F4: E0511000 80050038
	s_add_u32 m0, 0x700, s49                                   // 0000000086FC: 807C31FF 00000700
	v_mfma_f32_16x16x32_fp8_fp8 v[76:79], a[98:99], a[26:27], v[76:79]// 000000008704: D3F3004C 1D323562
	v_mfma_f32_16x16x32_fp8_fp8 v[76:79], a[100:101], a[28:29], v[76:79]// 00000000870C: D3F3004C 1D323964
	buffer_load_dword v57, s[20:23], 0 offen lds               // 000000008714: E0511000 80050039
	s_add_u32 m0, 0x800, s49                                   // 00000000871C: 807C31FF 00000800
	v_mfma_f32_16x16x32_fp8_fp8 v[76:79], a[102:103], a[30:31], v[76:79]// 000000008724: D3F3004C 1D323D66
	v_mfma_f32_16x16x32_fp8_fp8 v[96:99], a[104:105], a[24:25], v[96:99]// 00000000872C: D3F30060 1D823168
	buffer_load_dword v58, s[20:23], 0 offen lds               // 000000008734: E0511000 8005003A
	s_add_u32 m0, 0x900, s49                                   // 00000000873C: 807C31FF 00000900
	v_mfma_f32_16x16x32_fp8_fp8 v[96:99], a[106:107], a[26:27], v[96:99]// 000000008744: D3F30060 1D82356A
	v_mfma_f32_16x16x32_fp8_fp8 v[96:99], a[108:109], a[28:29], v[96:99]// 00000000874C: D3F30060 1D82396C
	buffer_load_dword v59, s[20:23], 0 offen lds               // 000000008754: E0511000 8005003B
	s_add_u32 m0, 0, s50                                       // 00000000875C: 807C3280
	v_mfma_f32_16x16x32_fp8_fp8 v[96:99], a[110:111], a[30:31], v[96:99]// 000000008760: D3F30060 1D823D6E
	v_mfma_f32_16x16x32_fp8_fp8 v[80:83], a[96:97], a[32:33], v[80:83]// 000000008768: D3F30050 1D424160
	v_mfma_f32_16x16x32_fp8_fp8 v[80:83], a[98:99], a[34:35], v[80:83]// 000000008770: D3F30050 1D424562
	v_mfma_f32_16x16x32_fp8_fp8 v[80:83], a[100:101], a[36:37], v[80:83]// 000000008778: D3F30050 1D424964
	v_mfma_f32_16x16x32_fp8_fp8 v[80:83], a[102:103], a[38:39], v[80:83]// 000000008780: D3F30050 1D424D66
	v_mfma_f32_16x16x32_fp8_fp8 v[100:103], a[104:105], a[32:33], v[100:103]// 000000008788: D3F30064 1D924168
	v_mfma_f32_16x16x32_fp8_fp8 v[100:103], a[106:107], a[34:35], v[100:103]// 000000008790: D3F30064 1D92456A
	v_mfma_f32_16x16x32_fp8_fp8 v[100:103], a[108:109], a[36:37], v[100:103]// 000000008798: D3F30064 1D92496C
	v_mfma_f32_16x16x32_fp8_fp8 v[100:103], a[110:111], a[38:39], v[100:103]// 0000000087A0: D3F30064 1D924D6E
	s_waitcnt vmcnt(14)                                        // 0000000087A8: BF8C0F7E
	s_barrier                                                  // 0000000087AC: BF8A0000
	v_mfma_f32_16x16x32_fp8_fp8 v[104:107], a[112:113], a[0:1], v[104:107]// 0000000087B0: D3F30068 1DA20170
	buffer_load_dwordx4 a[96:99], v60, s[84:87], 0 offen       // 0000000087B8: E05C1000 8095603C
	v_mfma_f32_16x16x32_fp8_fp8 v[104:107], a[114:115], a[2:3], v[104:107]// 0000000087C0: D3F30068 1DA20572
	v_mfma_f32_16x16x32_fp8_fp8 v[104:107], a[116:117], a[4:5], v[104:107]// 0000000087C8: D3F30068 1DA20974
	ds_read_b128 a[40:43], v2                                  // 0000000087D0: DBFE0000 28000002
	ds_read_b128 a[44:47], v2 offset:64                        // 0000000087D8: DBFE0040 2C000002
	v_mfma_f32_16x16x32_fp8_fp8 v[104:107], a[118:119], a[6:7], v[104:107]// 0000000087E0: D3F30068 1DA20D76
	v_mfma_f32_16x16x32_fp8_fp8 v[124:127], a[120:121], a[0:1], v[124:127]// 0000000087E8: D3F3007C 1DF20178
	buffer_load_dwordx4 a[100:103], v60, s[84:87], 0 offen offset:1024// 0000000087F0: E05C1400 8095643C
	v_mfma_f32_16x16x32_fp8_fp8 v[124:127], a[122:123], a[2:3], v[124:127]// 0000000087F8: D3F3007C 1DF2057A
	v_mfma_f32_16x16x32_fp8_fp8 v[124:127], a[124:125], a[4:5], v[124:127]// 000000008800: D3F3007C 1DF2097C
	ds_read_b128 a[48:51], v2 offset:512                       // 000000008808: DBFE0200 30000002
	ds_read_b128 a[52:55], v2 offset:576                       // 000000008810: DBFE0240 34000002
	v_mfma_f32_16x16x32_fp8_fp8 v[124:127], a[126:127], a[6:7], v[124:127]// 000000008818: D3F3007C 1DF20D7E
	v_mfma_f32_16x16x32_fp8_fp8 v[108:111], a[112:113], a[8:9], v[108:111]// 000000008820: D3F3006C 1DB21170
	buffer_load_dwordx4 a[104:107], v61, s[84:87], 0 offen     // 000000008828: E05C1000 8095683D
	v_mfma_f32_16x16x32_fp8_fp8 v[108:111], a[114:115], a[10:11], v[108:111]// 000000008830: D3F3006C 1DB21572
	v_mfma_f32_16x16x32_fp8_fp8 v[108:111], a[116:117], a[12:13], v[108:111]// 000000008838: D3F3006C 1DB21974
	ds_read_b128 a[56:59], v2 offset:1024                      // 000000008840: DBFE0400 38000002
	ds_read_b128 a[60:63], v2 offset:1088                      // 000000008848: DBFE0440 3C000002
	v_mfma_f32_16x16x32_fp8_fp8 v[108:111], a[118:119], a[14:15], v[108:111]// 000000008850: D3F3006C 1DB21D76
	v_mfma_f32_16x16x32_fp8_fp8 v[128:131], a[120:121], a[8:9], v[128:131]// 000000008858: D3F30080 1E021178
	buffer_load_dwordx4 a[108:111], v61, s[84:87], 0 offen offset:1024// 000000008860: E05C1400 80956C3D
	v_mfma_f32_16x16x32_fp8_fp8 v[128:131], a[122:123], a[10:11], v[128:131]// 000000008868: D3F30080 1E02157A
	v_mfma_f32_16x16x32_fp8_fp8 v[128:131], a[124:125], a[12:13], v[128:131]// 000000008870: D3F30080 1E02197C
	ds_read_b128 a[64:67], v2 offset:1536                      // 000000008878: DBFE0600 40000002
	ds_read_b128 a[68:71], v2 offset:1600                      // 000000008880: DBFE0640 44000002
	v_mfma_f32_16x16x32_fp8_fp8 v[128:131], a[126:127], a[14:15], v[128:131]// 000000008888: D3F30080 1E021D7E
	v_mfma_f32_16x16x32_fp8_fp8 v[112:115], a[112:113], a[16:17], v[112:115]// 000000008890: D3F30070 1DC22170
	v_mfma_f32_16x16x32_fp8_fp8 v[112:115], a[114:115], a[18:19], v[112:115]// 000000008898: D3F30070 1DC22572
	v_mfma_f32_16x16x32_fp8_fp8 v[112:115], a[116:117], a[20:21], v[112:115]// 0000000088A0: D3F30070 1DC22974
	ds_read_b128 a[72:75], v2 offset:2048                      // 0000000088A8: DBFE0800 48000002
	ds_read_b128 a[76:79], v2 offset:2112                      // 0000000088B0: DBFE0840 4C000002
	v_mfma_f32_16x16x32_fp8_fp8 v[112:115], a[118:119], a[22:23], v[112:115]// 0000000088B8: D3F30070 1DC22D76
	v_mfma_f32_16x16x32_fp8_fp8 v[132:135], a[120:121], a[16:17], v[132:135]// 0000000088C0: D3F30084 1E122178
	v_mfma_f32_16x16x32_fp8_fp8 v[132:135], a[122:123], a[18:19], v[132:135]// 0000000088C8: D3F30084 1E12257A
	v_mfma_f32_16x16x32_fp8_fp8 v[132:135], a[124:125], a[20:21], v[132:135]// 0000000088D0: D3F30084 1E12297C
	v_mfma_f32_16x16x32_fp8_fp8 v[132:135], a[126:127], a[22:23], v[132:135]// 0000000088D8: D3F30084 1E122D7E
	v_mfma_f32_16x16x32_fp8_fp8 v[116:119], a[112:113], a[24:25], v[116:119]// 0000000088E0: D3F30074 1DD23170
	v_mfma_f32_16x16x32_fp8_fp8 v[116:119], a[114:115], a[26:27], v[116:119]// 0000000088E8: D3F30074 1DD23572
	v_mfma_f32_16x16x32_fp8_fp8 v[116:119], a[116:117], a[28:29], v[116:119]// 0000000088F0: D3F30074 1DD23974
	v_mfma_f32_16x16x32_fp8_fp8 v[116:119], a[118:119], a[30:31], v[116:119]// 0000000088F8: D3F30074 1DD23D76
	v_mfma_f32_16x16x32_fp8_fp8 v[136:139], a[120:121], a[24:25], v[136:139]// 000000008900: D3F30088 1E223178
	v_mfma_f32_16x16x32_fp8_fp8 v[136:139], a[122:123], a[26:27], v[136:139]// 000000008908: D3F30088 1E22357A
	v_mfma_f32_16x16x32_fp8_fp8 v[136:139], a[124:125], a[28:29], v[136:139]// 000000008910: D3F30088 1E22397C
	v_mfma_f32_16x16x32_fp8_fp8 v[136:139], a[126:127], a[30:31], v[136:139]// 000000008918: D3F30088 1E223D7E
	v_mfma_f32_16x16x32_fp8_fp8 v[120:123], a[112:113], a[32:33], v[120:123]// 000000008920: D3F30078 1DE24170
	s_add_u32 s60, 0x180, s80                                  // 000000008928: 803C50FF 00000180
	s_cmp_lt_u32 s60, s81                                      // 000000008930: BF0A513C
	s_cselect_b32 s57, s57, 0                                  // 000000008934: 85398039
	v_mfma_f32_16x16x32_fp8_fp8 v[120:123], a[114:115], a[34:35], v[120:123]// 000000008938: D3F30078 1DE24572
	s_add_u32 s60, 0x100, s80                                  // 000000008940: 803C50FF 00000100
	s_cmp_lt_u32 s60, s81                                      // 000000008948: BF0A513C
	s_cselect_b32 s58, s58, 0                                  // 00000000894C: 853A803A
	v_mfma_f32_16x16x32_fp8_fp8 v[120:123], a[116:117], a[36:37], v[120:123]// 000000008950: D3F30078 1DE24974
	s_add_u32 s60, 0x100, s80                                  // 000000008958: 803C50FF 00000100
	s_cmp_lt_u32 s60, s81                                      // 000000008960: BF0A513C
	s_cselect_b32 s83, s83, 0                                  // 000000008964: 85538053
	v_mfma_f32_16x16x32_fp8_fp8 v[120:123], a[118:119], a[38:39], v[120:123]// 000000008968: D3F30078 1DE24D76
	s_add_u32 s24, s58, s24                                    // 000000008970: 8018183A
	s_addc_u32 s25, 0, s25                                     // 000000008974: 82191980
	v_mfma_f32_16x16x32_fp8_fp8 v[140:143], a[120:121], a[32:33], v[140:143]// 000000008978: D3F3008C 1E324178
	s_add_u32 s20, s57, s20                                    // 000000008980: 80141439
	s_addc_u32 s21, 0, s21                                     // 000000008984: 82151580
	v_mfma_f32_16x16x32_fp8_fp8 v[140:143], a[122:123], a[34:35], v[140:143]// 000000008988: D3F3008C 1E32457A
	s_add_u32 s84, s83, s84                                    // 000000008990: 80545453
	s_addc_u32 s85, 0, s85                                     // 000000008994: 82555580
	v_mfma_f32_16x16x32_fp8_fp8 v[140:143], a[124:125], a[36:37], v[140:143]// 000000008998: D3F3008C 1E32497C
	v_mfma_f32_16x16x32_fp8_fp8 v[140:143], a[126:127], a[38:39], v[140:143]// 0000000089A0: D3F3008C 1E324D7E
	s_addk_i32 s80, 0x80                                       // 0000000089A8: B7500080
	s_cmp_lt_i32 s80, s81                                      // 0000000089AC: BF045150
	s_cbranch_scc0 label_1AFA                                  // 0000000089B0: BF84030A
	s_waitcnt vmcnt(14) lgkmcnt(0)                             // 0000000089B4: BF8C007E
	v_mfma_f32_16x16x32_fp8_fp8 v[64:67], a[80:81], a[40:41], v[64:67]// 0000000089B8: D3F30040 1D025150
	buffer_load_dwordx4 a[112:115], v60, s[24:27], 0 offen     // 0000000089C0: E05C1000 8086703C
	v_mfma_f32_16x16x32_fp8_fp8 v[64:67], a[82:83], a[42:43], v[64:67]// 0000000089C8: D3F30040 1D025552
	v_mfma_f32_16x16x32_fp8_fp8 v[64:67], a[84:85], a[44:45], v[64:67]// 0000000089D0: D3F30040 1D025954
	v_mfma_f32_16x16x32_fp8_fp8 v[64:67], a[86:87], a[46:47], v[64:67]// 0000000089D8: D3F30040 1D025D56
	v_mfma_f32_16x16x32_fp8_fp8 v[84:87], a[88:89], a[40:41], v[84:87]// 0000000089E0: D3F30054 1D525158
	buffer_load_dwordx4 a[116:119], v60, s[24:27], 0 offen offset:1024// 0000000089E8: E05C1400 8086743C
	v_mfma_f32_16x16x32_fp8_fp8 v[84:87], a[90:91], a[42:43], v[84:87]// 0000000089F0: D3F30054 1D52555A
	v_mfma_f32_16x16x32_fp8_fp8 v[84:87], a[92:93], a[44:45], v[84:87]// 0000000089F8: D3F30054 1D52595C
	v_mfma_f32_16x16x32_fp8_fp8 v[84:87], a[94:95], a[46:47], v[84:87]// 000000008A00: D3F30054 1D525D5E
	v_mfma_f32_16x16x32_fp8_fp8 v[68:71], a[80:81], a[48:49], v[68:71]// 000000008A08: D3F30044 1D126150
	buffer_load_dwordx4 a[120:123], v61, s[24:27], 0 offen     // 000000008A10: E05C1000 8086783D
	v_mfma_f32_16x16x32_fp8_fp8 v[68:71], a[82:83], a[50:51], v[68:71]// 000000008A18: D3F30044 1D126552
	v_mfma_f32_16x16x32_fp8_fp8 v[68:71], a[84:85], a[52:53], v[68:71]// 000000008A20: D3F30044 1D126954
	v_mfma_f32_16x16x32_fp8_fp8 v[68:71], a[86:87], a[54:55], v[68:71]// 000000008A28: D3F30044 1D126D56
	v_mfma_f32_16x16x32_fp8_fp8 v[88:91], a[88:89], a[48:49], v[88:91]// 000000008A30: D3F30058 1D626158
	buffer_load_dwordx4 a[124:127], v61, s[24:27], 0 offen offset:1024// 000000008A38: E05C1400 80867C3D
	buffer_load_dword v50, s[20:23], 0 offen lds               // 000000008A40: E0511000 80050032
	s_add_u32 m0, 0x100, s50                                   // 000000008A48: 807C32FF 00000100
	v_mfma_f32_16x16x32_fp8_fp8 v[88:91], a[90:91], a[50:51], v[88:91]// 000000008A50: D3F30058 1D62655A
	v_mfma_f32_16x16x32_fp8_fp8 v[88:91], a[92:93], a[52:53], v[88:91]// 000000008A58: D3F30058 1D62695C
	buffer_load_dword v51, s[20:23], 0 offen lds               // 000000008A60: E0511000 80050033
	s_add_u32 m0, 0x200, s50                                   // 000000008A68: 807C32FF 00000200
	v_mfma_f32_16x16x32_fp8_fp8 v[88:91], a[94:95], a[54:55], v[88:91]// 000000008A70: D3F30058 1D626D5E
	v_mfma_f32_16x16x32_fp8_fp8 v[72:75], a[80:81], a[56:57], v[72:75]// 000000008A78: D3F30048 1D227150
	buffer_load_dword v52, s[20:23], 0 offen lds               // 000000008A80: E0511000 80050034
	s_add_u32 m0, 0x300, s50                                   // 000000008A88: 807C32FF 00000300
	v_mfma_f32_16x16x32_fp8_fp8 v[72:75], a[82:83], a[58:59], v[72:75]// 000000008A90: D3F30048 1D227552
	v_mfma_f32_16x16x32_fp8_fp8 v[72:75], a[84:85], a[60:61], v[72:75]// 000000008A98: D3F30048 1D227954
	buffer_load_dword v53, s[20:23], 0 offen lds               // 000000008AA0: E0511000 80050035
	s_add_u32 m0, 0x400, s50                                   // 000000008AA8: 807C32FF 00000400
	v_mfma_f32_16x16x32_fp8_fp8 v[72:75], a[86:87], a[62:63], v[72:75]// 000000008AB0: D3F30048 1D227D56
	v_mfma_f32_16x16x32_fp8_fp8 v[92:95], a[88:89], a[56:57], v[92:95]// 000000008AB8: D3F3005C 1D727158
	buffer_load_dword v54, s[20:23], 0 offen lds               // 000000008AC0: E0511000 80050036
	s_add_u32 m0, 0x500, s50                                   // 000000008AC8: 807C32FF 00000500
	v_mfma_f32_16x16x32_fp8_fp8 v[92:95], a[90:91], a[58:59], v[92:95]// 000000008AD0: D3F3005C 1D72755A
	v_mfma_f32_16x16x32_fp8_fp8 v[92:95], a[92:93], a[60:61], v[92:95]// 000000008AD8: D3F3005C 1D72795C
	buffer_load_dword v55, s[20:23], 0 offen lds               // 000000008AE0: E0511000 80050037
	s_add_u32 m0, 0x600, s50                                   // 000000008AE8: 807C32FF 00000600
	v_mfma_f32_16x16x32_fp8_fp8 v[92:95], a[94:95], a[62:63], v[92:95]// 000000008AF0: D3F3005C 1D727D5E
	v_mfma_f32_16x16x32_fp8_fp8 v[76:79], a[80:81], a[64:65], v[76:79]// 000000008AF8: D3F3004C 1D328150
	buffer_load_dword v56, s[20:23], 0 offen lds               // 000000008B00: E0511000 80050038
	s_add_u32 m0, 0x700, s50                                   // 000000008B08: 807C32FF 00000700
	v_mfma_f32_16x16x32_fp8_fp8 v[76:79], a[82:83], a[66:67], v[76:79]// 000000008B10: D3F3004C 1D328552
	v_mfma_f32_16x16x32_fp8_fp8 v[76:79], a[84:85], a[68:69], v[76:79]// 000000008B18: D3F3004C 1D328954
	buffer_load_dword v57, s[20:23], 0 offen lds               // 000000008B20: E0511000 80050039
	s_add_u32 m0, 0x800, s50                                   // 000000008B28: 807C32FF 00000800
	v_mfma_f32_16x16x32_fp8_fp8 v[76:79], a[86:87], a[70:71], v[76:79]// 000000008B30: D3F3004C 1D328D56
	v_mfma_f32_16x16x32_fp8_fp8 v[96:99], a[88:89], a[64:65], v[96:99]// 000000008B38: D3F30060 1D828158
	buffer_load_dword v58, s[20:23], 0 offen lds               // 000000008B40: E0511000 8005003A
	s_add_u32 m0, 0x900, s50                                   // 000000008B48: 807C32FF 00000900
	v_mfma_f32_16x16x32_fp8_fp8 v[96:99], a[90:91], a[66:67], v[96:99]// 000000008B50: D3F30060 1D82855A
	v_mfma_f32_16x16x32_fp8_fp8 v[96:99], a[92:93], a[68:69], v[96:99]// 000000008B58: D3F30060 1D82895C
	buffer_load_dword v59, s[20:23], 0 offen lds               // 000000008B60: E0511000 8005003B
	s_add_u32 m0, 0, s48                                       // 000000008B68: 807C3080
	v_mfma_f32_16x16x32_fp8_fp8 v[96:99], a[94:95], a[70:71], v[96:99]// 000000008B6C: D3F30060 1D828D5E
	v_mfma_f32_16x16x32_fp8_fp8 v[80:83], a[80:81], a[72:73], v[80:83]// 000000008B74: D3F30050 1D429150
	v_mfma_f32_16x16x32_fp8_fp8 v[80:83], a[82:83], a[74:75], v[80:83]// 000000008B7C: D3F30050 1D429552
	v_mfma_f32_16x16x32_fp8_fp8 v[80:83], a[84:85], a[76:77], v[80:83]// 000000008B84: D3F30050 1D429954
	v_mfma_f32_16x16x32_fp8_fp8 v[80:83], a[86:87], a[78:79], v[80:83]// 000000008B8C: D3F30050 1D429D56
	v_mfma_f32_16x16x32_fp8_fp8 v[100:103], a[88:89], a[72:73], v[100:103]// 000000008B94: D3F30064 1D929158
	v_mfma_f32_16x16x32_fp8_fp8 v[100:103], a[90:91], a[74:75], v[100:103]// 000000008B9C: D3F30064 1D92955A
	v_mfma_f32_16x16x32_fp8_fp8 v[100:103], a[92:93], a[76:77], v[100:103]// 000000008BA4: D3F30064 1D92995C
	v_mfma_f32_16x16x32_fp8_fp8 v[100:103], a[94:95], a[78:79], v[100:103]// 000000008BAC: D3F30064 1D929D5E
	s_waitcnt vmcnt(14)                                        // 000000008BB4: BF8C0F7E
	s_barrier                                                  // 000000008BB8: BF8A0000
	v_mfma_f32_16x16x32_fp8_fp8 v[104:107], a[96:97], a[40:41], v[104:107]// 000000008BBC: D3F30068 1DA25160
	buffer_load_dwordx4 a[80:83], v60, s[84:87], 0 offen       // 000000008BC4: E05C1000 8095503C
	v_mfma_f32_16x16x32_fp8_fp8 v[104:107], a[98:99], a[42:43], v[104:107]// 000000008BCC: D3F30068 1DA25562
	v_mfma_f32_16x16x32_fp8_fp8 v[104:107], a[100:101], a[44:45], v[104:107]// 000000008BD4: D3F30068 1DA25964
	ds_read_b128 a[0:3], v2 offset:10368                       // 000000008BDC: DBFE2880 00000002
	ds_read_b128 a[4:7], v2 offset:10432                       // 000000008BE4: DBFE28C0 04000002
	v_mfma_f32_16x16x32_fp8_fp8 v[104:107], a[102:103], a[46:47], v[104:107]// 000000008BEC: D3F30068 1DA25D66
	v_mfma_f32_16x16x32_fp8_fp8 v[124:127], a[104:105], a[40:41], v[124:127]// 000000008BF4: D3F3007C 1DF25168
	buffer_load_dwordx4 a[84:87], v60, s[84:87], 0 offen offset:1024// 000000008BFC: E05C1400 8095543C
	v_mfma_f32_16x16x32_fp8_fp8 v[124:127], a[106:107], a[42:43], v[124:127]// 000000008C04: D3F3007C 1DF2556A
	v_mfma_f32_16x16x32_fp8_fp8 v[124:127], a[108:109], a[44:45], v[124:127]// 000000008C0C: D3F3007C 1DF2596C
	ds_read_b128 a[8:11], v2 offset:10880                      // 000000008C14: DBFE2A80 08000002
	ds_read_b128 a[12:15], v2 offset:10944                     // 000000008C1C: DBFE2AC0 0C000002
	v_mfma_f32_16x16x32_fp8_fp8 v[124:127], a[110:111], a[46:47], v[124:127]// 000000008C24: D3F3007C 1DF25D6E
	v_mfma_f32_16x16x32_fp8_fp8 v[108:111], a[96:97], a[48:49], v[108:111]// 000000008C2C: D3F3006C 1DB26160
	buffer_load_dwordx4 a[88:91], v61, s[84:87], 0 offen       // 000000008C34: E05C1000 8095583D
	v_mfma_f32_16x16x32_fp8_fp8 v[108:111], a[98:99], a[50:51], v[108:111]// 000000008C3C: D3F3006C 1DB26562
	v_mfma_f32_16x16x32_fp8_fp8 v[108:111], a[100:101], a[52:53], v[108:111]// 000000008C44: D3F3006C 1DB26964
	ds_read_b128 a[16:19], v2 offset:11392                     // 000000008C4C: DBFE2C80 10000002
	ds_read_b128 a[20:23], v2 offset:11456                     // 000000008C54: DBFE2CC0 14000002
	v_mfma_f32_16x16x32_fp8_fp8 v[108:111], a[102:103], a[54:55], v[108:111]// 000000008C5C: D3F3006C 1DB26D66
	v_mfma_f32_16x16x32_fp8_fp8 v[128:131], a[104:105], a[48:49], v[128:131]// 000000008C64: D3F30080 1E026168
	buffer_load_dwordx4 a[92:95], v61, s[84:87], 0 offen offset:1024// 000000008C6C: E05C1400 80955C3D
	v_mfma_f32_16x16x32_fp8_fp8 v[128:131], a[106:107], a[50:51], v[128:131]// 000000008C74: D3F30080 1E02656A
	v_mfma_f32_16x16x32_fp8_fp8 v[128:131], a[108:109], a[52:53], v[128:131]// 000000008C7C: D3F30080 1E02696C
	ds_read_b128 a[24:27], v2 offset:11904                     // 000000008C84: DBFE2E80 18000002
	ds_read_b128 a[28:31], v2 offset:11968                     // 000000008C8C: DBFE2EC0 1C000002
	v_mfma_f32_16x16x32_fp8_fp8 v[128:131], a[110:111], a[54:55], v[128:131]// 000000008C94: D3F30080 1E026D6E
	v_mfma_f32_16x16x32_fp8_fp8 v[112:115], a[96:97], a[56:57], v[112:115]// 000000008C9C: D3F30070 1DC27160
	v_mfma_f32_16x16x32_fp8_fp8 v[112:115], a[98:99], a[58:59], v[112:115]// 000000008CA4: D3F30070 1DC27562
	v_mfma_f32_16x16x32_fp8_fp8 v[112:115], a[100:101], a[60:61], v[112:115]// 000000008CAC: D3F30070 1DC27964
	ds_read_b128 a[32:35], v2 offset:12416                     // 000000008CB4: DBFE3080 20000002
	ds_read_b128 a[36:39], v2 offset:12480                     // 000000008CBC: DBFE30C0 24000002
	v_mfma_f32_16x16x32_fp8_fp8 v[112:115], a[102:103], a[62:63], v[112:115]// 000000008CC4: D3F30070 1DC27D66
	v_mfma_f32_16x16x32_fp8_fp8 v[132:135], a[104:105], a[56:57], v[132:135]// 000000008CCC: D3F30084 1E127168
	v_mfma_f32_16x16x32_fp8_fp8 v[132:135], a[106:107], a[58:59], v[132:135]// 000000008CD4: D3F30084 1E12756A
	v_mfma_f32_16x16x32_fp8_fp8 v[132:135], a[108:109], a[60:61], v[132:135]// 000000008CDC: D3F30084 1E12796C
	v_mfma_f32_16x16x32_fp8_fp8 v[132:135], a[110:111], a[62:63], v[132:135]// 000000008CE4: D3F30084 1E127D6E
	v_mfma_f32_16x16x32_fp8_fp8 v[116:119], a[96:97], a[64:65], v[116:119]// 000000008CEC: D3F30074 1DD28160
	v_mfma_f32_16x16x32_fp8_fp8 v[116:119], a[98:99], a[66:67], v[116:119]// 000000008CF4: D3F30074 1DD28562
	v_mfma_f32_16x16x32_fp8_fp8 v[116:119], a[100:101], a[68:69], v[116:119]// 000000008CFC: D3F30074 1DD28964
	v_mfma_f32_16x16x32_fp8_fp8 v[116:119], a[102:103], a[70:71], v[116:119]// 000000008D04: D3F30074 1DD28D66
	v_mfma_f32_16x16x32_fp8_fp8 v[136:139], a[104:105], a[64:65], v[136:139]// 000000008D0C: D3F30088 1E228168
	v_mfma_f32_16x16x32_fp8_fp8 v[136:139], a[106:107], a[66:67], v[136:139]// 000000008D14: D3F30088 1E22856A
	v_mfma_f32_16x16x32_fp8_fp8 v[136:139], a[108:109], a[68:69], v[136:139]// 000000008D1C: D3F30088 1E22896C
	v_mfma_f32_16x16x32_fp8_fp8 v[136:139], a[110:111], a[70:71], v[136:139]// 000000008D24: D3F30088 1E228D6E
	v_mfma_f32_16x16x32_fp8_fp8 v[120:123], a[96:97], a[72:73], v[120:123]// 000000008D2C: D3F30078 1DE29160
	s_add_u32 s60, 0x180, s80                                  // 000000008D34: 803C50FF 00000180
	s_cmp_lt_u32 s60, s81                                      // 000000008D3C: BF0A513C
	s_cselect_b32 s57, s57, 0                                  // 000000008D40: 85398039
	v_mfma_f32_16x16x32_fp8_fp8 v[120:123], a[98:99], a[74:75], v[120:123]// 000000008D44: D3F30078 1DE29562
	s_add_u32 s60, 0x100, s80                                  // 000000008D4C: 803C50FF 00000100
	s_cmp_lt_u32 s60, s81                                      // 000000008D54: BF0A513C
	s_cselect_b32 s58, s58, 0                                  // 000000008D58: 853A803A
	v_mfma_f32_16x16x32_fp8_fp8 v[120:123], a[100:101], a[76:77], v[120:123]// 000000008D5C: D3F30078 1DE29964
	s_add_u32 s60, 0x100, s80                                  // 000000008D64: 803C50FF 00000100
	s_cmp_lt_u32 s60, s81                                      // 000000008D6C: BF0A513C
	s_cselect_b32 s83, s83, 0                                  // 000000008D70: 85538053
	v_mfma_f32_16x16x32_fp8_fp8 v[120:123], a[102:103], a[78:79], v[120:123]// 000000008D74: D3F30078 1DE29D66
	s_add_u32 s24, s58, s24                                    // 000000008D7C: 8018183A
	s_addc_u32 s25, 0, s25                                     // 000000008D80: 82191980
	v_mfma_f32_16x16x32_fp8_fp8 v[140:143], a[104:105], a[72:73], v[140:143]// 000000008D84: D3F3008C 1E329168
	s_add_u32 s20, s57, s20                                    // 000000008D8C: 80141439
	s_addc_u32 s21, 0, s21                                     // 000000008D90: 82151580
	v_mfma_f32_16x16x32_fp8_fp8 v[140:143], a[106:107], a[74:75], v[140:143]// 000000008D94: D3F3008C 1E32956A
	s_add_u32 s84, s83, s84                                    // 000000008D9C: 80545453
	s_addc_u32 s85, 0, s85                                     // 000000008DA0: 82555580
	v_mfma_f32_16x16x32_fp8_fp8 v[140:143], a[108:109], a[76:77], v[140:143]// 000000008DA4: D3F3008C 1E32996C
	v_mfma_f32_16x16x32_fp8_fp8 v[140:143], a[110:111], a[78:79], v[140:143]// 000000008DAC: D3F3008C 1E329D6E
	s_addk_i32 s80, 0x80                                       // 000000008DB4: B7500080
	s_cmp_lt_i32 s80, s81                                      // 000000008DB8: BF045150
	s_cbranch_scc0 label_1AFA                                  // 000000008DBC: BF840207
	s_waitcnt vmcnt(14) lgkmcnt(0)                             // 000000008DC0: BF8C007E
	v_mfma_f32_16x16x32_fp8_fp8 v[64:67], a[112:113], a[0:1], v[64:67]// 000000008DC4: D3F30040 1D020170
	buffer_load_dwordx4 a[96:99], v60, s[24:27], 0 offen       // 000000008DCC: E05C1000 8086603C
	v_mfma_f32_16x16x32_fp8_fp8 v[64:67], a[114:115], a[2:3], v[64:67]// 000000008DD4: D3F30040 1D020572
	v_mfma_f32_16x16x32_fp8_fp8 v[64:67], a[116:117], a[4:5], v[64:67]// 000000008DDC: D3F30040 1D020974
	v_mfma_f32_16x16x32_fp8_fp8 v[64:67], a[118:119], a[6:7], v[64:67]// 000000008DE4: D3F30040 1D020D76
	v_mfma_f32_16x16x32_fp8_fp8 v[84:87], a[120:121], a[0:1], v[84:87]// 000000008DEC: D3F30054 1D520178
	buffer_load_dwordx4 a[100:103], v60, s[24:27], 0 offen offset:1024// 000000008DF4: E05C1400 8086643C
	v_mfma_f32_16x16x32_fp8_fp8 v[84:87], a[122:123], a[2:3], v[84:87]// 000000008DFC: D3F30054 1D52057A
	v_mfma_f32_16x16x32_fp8_fp8 v[84:87], a[124:125], a[4:5], v[84:87]// 000000008E04: D3F30054 1D52097C
	v_mfma_f32_16x16x32_fp8_fp8 v[84:87], a[126:127], a[6:7], v[84:87]// 000000008E0C: D3F30054 1D520D7E
	v_mfma_f32_16x16x32_fp8_fp8 v[68:71], a[112:113], a[8:9], v[68:71]// 000000008E14: D3F30044 1D121170
	buffer_load_dwordx4 a[104:107], v61, s[24:27], 0 offen     // 000000008E1C: E05C1000 8086683D
	v_mfma_f32_16x16x32_fp8_fp8 v[68:71], a[114:115], a[10:11], v[68:71]// 000000008E24: D3F30044 1D121572
	v_mfma_f32_16x16x32_fp8_fp8 v[68:71], a[116:117], a[12:13], v[68:71]// 000000008E2C: D3F30044 1D121974
	v_mfma_f32_16x16x32_fp8_fp8 v[68:71], a[118:119], a[14:15], v[68:71]// 000000008E34: D3F30044 1D121D76
	v_mfma_f32_16x16x32_fp8_fp8 v[88:91], a[120:121], a[8:9], v[88:91]// 000000008E3C: D3F30058 1D621178
	buffer_load_dwordx4 a[108:111], v61, s[24:27], 0 offen offset:1024// 000000008E44: E05C1400 80866C3D
	buffer_load_dword v50, s[20:23], 0 offen lds               // 000000008E4C: E0511000 80050032
	s_add_u32 m0, 0x100, s48                                   // 000000008E54: 807C30FF 00000100
	v_mfma_f32_16x16x32_fp8_fp8 v[88:91], a[122:123], a[10:11], v[88:91]// 000000008E5C: D3F30058 1D62157A
	v_mfma_f32_16x16x32_fp8_fp8 v[88:91], a[124:125], a[12:13], v[88:91]// 000000008E64: D3F30058 1D62197C
	buffer_load_dword v51, s[20:23], 0 offen lds               // 000000008E6C: E0511000 80050033
	s_add_u32 m0, 0x200, s48                                   // 000000008E74: 807C30FF 00000200
	v_mfma_f32_16x16x32_fp8_fp8 v[88:91], a[126:127], a[14:15], v[88:91]// 000000008E7C: D3F30058 1D621D7E
	v_mfma_f32_16x16x32_fp8_fp8 v[72:75], a[112:113], a[16:17], v[72:75]// 000000008E84: D3F30048 1D222170
	buffer_load_dword v52, s[20:23], 0 offen lds               // 000000008E8C: E0511000 80050034
	s_add_u32 m0, 0x300, s48                                   // 000000008E94: 807C30FF 00000300
	v_mfma_f32_16x16x32_fp8_fp8 v[72:75], a[114:115], a[18:19], v[72:75]// 000000008E9C: D3F30048 1D222572
	v_mfma_f32_16x16x32_fp8_fp8 v[72:75], a[116:117], a[20:21], v[72:75]// 000000008EA4: D3F30048 1D222974
	buffer_load_dword v53, s[20:23], 0 offen lds               // 000000008EAC: E0511000 80050035
	s_add_u32 m0, 0x400, s48                                   // 000000008EB4: 807C30FF 00000400
	v_mfma_f32_16x16x32_fp8_fp8 v[72:75], a[118:119], a[22:23], v[72:75]// 000000008EBC: D3F30048 1D222D76
	v_mfma_f32_16x16x32_fp8_fp8 v[92:95], a[120:121], a[16:17], v[92:95]// 000000008EC4: D3F3005C 1D722178
	buffer_load_dword v54, s[20:23], 0 offen lds               // 000000008ECC: E0511000 80050036
	s_add_u32 m0, 0x500, s48                                   // 000000008ED4: 807C30FF 00000500
	v_mfma_f32_16x16x32_fp8_fp8 v[92:95], a[122:123], a[18:19], v[92:95]// 000000008EDC: D3F3005C 1D72257A
	v_mfma_f32_16x16x32_fp8_fp8 v[92:95], a[124:125], a[20:21], v[92:95]// 000000008EE4: D3F3005C 1D72297C
	buffer_load_dword v55, s[20:23], 0 offen lds               // 000000008EEC: E0511000 80050037
	s_add_u32 m0, 0x600, s48                                   // 000000008EF4: 807C30FF 00000600
	v_mfma_f32_16x16x32_fp8_fp8 v[92:95], a[126:127], a[22:23], v[92:95]// 000000008EFC: D3F3005C 1D722D7E
	v_mfma_f32_16x16x32_fp8_fp8 v[76:79], a[112:113], a[24:25], v[76:79]// 000000008F04: D3F3004C 1D323170
	buffer_load_dword v56, s[20:23], 0 offen lds               // 000000008F0C: E0511000 80050038
	s_add_u32 m0, 0x700, s48                                   // 000000008F14: 807C30FF 00000700
	v_mfma_f32_16x16x32_fp8_fp8 v[76:79], a[114:115], a[26:27], v[76:79]// 000000008F1C: D3F3004C 1D323572
	v_mfma_f32_16x16x32_fp8_fp8 v[76:79], a[116:117], a[28:29], v[76:79]// 000000008F24: D3F3004C 1D323974
	buffer_load_dword v57, s[20:23], 0 offen lds               // 000000008F2C: E0511000 80050039
	s_add_u32 m0, 0x800, s48                                   // 000000008F34: 807C30FF 00000800
	v_mfma_f32_16x16x32_fp8_fp8 v[76:79], a[118:119], a[30:31], v[76:79]// 000000008F3C: D3F3004C 1D323D76
	v_mfma_f32_16x16x32_fp8_fp8 v[96:99], a[120:121], a[24:25], v[96:99]// 000000008F44: D3F30060 1D823178
	buffer_load_dword v58, s[20:23], 0 offen lds               // 000000008F4C: E0511000 8005003A
	s_add_u32 m0, 0x900, s48                                   // 000000008F54: 807C30FF 00000900
	v_mfma_f32_16x16x32_fp8_fp8 v[96:99], a[122:123], a[26:27], v[96:99]// 000000008F5C: D3F30060 1D82357A
	v_mfma_f32_16x16x32_fp8_fp8 v[96:99], a[124:125], a[28:29], v[96:99]// 000000008F64: D3F30060 1D82397C
	buffer_load_dword v59, s[20:23], 0 offen lds               // 000000008F6C: E0511000 8005003B
	s_add_u32 m0, 0, s49                                       // 000000008F74: 807C3180
	v_mfma_f32_16x16x32_fp8_fp8 v[96:99], a[126:127], a[30:31], v[96:99]// 000000008F78: D3F30060 1D823D7E
	v_mfma_f32_16x16x32_fp8_fp8 v[80:83], a[112:113], a[32:33], v[80:83]// 000000008F80: D3F30050 1D424170
	v_mfma_f32_16x16x32_fp8_fp8 v[80:83], a[114:115], a[34:35], v[80:83]// 000000008F88: D3F30050 1D424572
	v_mfma_f32_16x16x32_fp8_fp8 v[80:83], a[116:117], a[36:37], v[80:83]// 000000008F90: D3F30050 1D424974
	v_mfma_f32_16x16x32_fp8_fp8 v[80:83], a[118:119], a[38:39], v[80:83]// 000000008F98: D3F30050 1D424D76
	v_mfma_f32_16x16x32_fp8_fp8 v[100:103], a[120:121], a[32:33], v[100:103]// 000000008FA0: D3F30064 1D924178
	v_mfma_f32_16x16x32_fp8_fp8 v[100:103], a[122:123], a[34:35], v[100:103]// 000000008FA8: D3F30064 1D92457A
	v_mfma_f32_16x16x32_fp8_fp8 v[100:103], a[124:125], a[36:37], v[100:103]// 000000008FB0: D3F30064 1D92497C
	v_mfma_f32_16x16x32_fp8_fp8 v[100:103], a[126:127], a[38:39], v[100:103]// 000000008FB8: D3F30064 1D924D7E
	s_waitcnt vmcnt(14)                                        // 000000008FC0: BF8C0F7E
	s_barrier                                                  // 000000008FC4: BF8A0000
	v_mfma_f32_16x16x32_fp8_fp8 v[104:107], a[80:81], a[0:1], v[104:107]// 000000008FC8: D3F30068 1DA20150
	buffer_load_dwordx4 a[112:115], v60, s[84:87], 0 offen     // 000000008FD0: E05C1000 8095703C
	v_mfma_f32_16x16x32_fp8_fp8 v[104:107], a[82:83], a[2:3], v[104:107]// 000000008FD8: D3F30068 1DA20552
	v_mfma_f32_16x16x32_fp8_fp8 v[104:107], a[84:85], a[4:5], v[104:107]// 000000008FE0: D3F30068 1DA20954
	ds_read_b128 a[40:43], v2 offset:20736                     // 000000008FE8: DBFE5100 28000002
	ds_read_b128 a[44:47], v2 offset:20800                     // 000000008FF0: DBFE5140 2C000002
	v_mfma_f32_16x16x32_fp8_fp8 v[104:107], a[86:87], a[6:7], v[104:107]// 000000008FF8: D3F30068 1DA20D56
	v_mfma_f32_16x16x32_fp8_fp8 v[124:127], a[88:89], a[0:1], v[124:127]// 000000009000: D3F3007C 1DF20158
	buffer_load_dwordx4 a[116:119], v60, s[84:87], 0 offen offset:1024// 000000009008: E05C1400 8095743C
	v_mfma_f32_16x16x32_fp8_fp8 v[124:127], a[90:91], a[2:3], v[124:127]// 000000009010: D3F3007C 1DF2055A
	v_mfma_f32_16x16x32_fp8_fp8 v[124:127], a[92:93], a[4:5], v[124:127]// 000000009018: D3F3007C 1DF2095C
	ds_read_b128 a[48:51], v2 offset:21248                     // 000000009020: DBFE5300 30000002
	ds_read_b128 a[52:55], v2 offset:21312                     // 000000009028: DBFE5340 34000002
	v_mfma_f32_16x16x32_fp8_fp8 v[124:127], a[94:95], a[6:7], v[124:127]// 000000009030: D3F3007C 1DF20D5E
	v_mfma_f32_16x16x32_fp8_fp8 v[108:111], a[80:81], a[8:9], v[108:111]// 000000009038: D3F3006C 1DB21150
	buffer_load_dwordx4 a[120:123], v61, s[84:87], 0 offen     // 000000009040: E05C1000 8095783D
	v_mfma_f32_16x16x32_fp8_fp8 v[108:111], a[82:83], a[10:11], v[108:111]// 000000009048: D3F3006C 1DB21552
	v_mfma_f32_16x16x32_fp8_fp8 v[108:111], a[84:85], a[12:13], v[108:111]// 000000009050: D3F3006C 1DB21954
	ds_read_b128 a[56:59], v2 offset:21760                     // 000000009058: DBFE5500 38000002
	ds_read_b128 a[60:63], v2 offset:21824                     // 000000009060: DBFE5540 3C000002
	v_mfma_f32_16x16x32_fp8_fp8 v[108:111], a[86:87], a[14:15], v[108:111]// 000000009068: D3F3006C 1DB21D56
	v_mfma_f32_16x16x32_fp8_fp8 v[128:131], a[88:89], a[8:9], v[128:131]// 000000009070: D3F30080 1E021158
	buffer_load_dwordx4 a[124:127], v61, s[84:87], 0 offen offset:1024// 000000009078: E05C1400 80957C3D
	v_mfma_f32_16x16x32_fp8_fp8 v[128:131], a[90:91], a[10:11], v[128:131]// 000000009080: D3F30080 1E02155A
	v_mfma_f32_16x16x32_fp8_fp8 v[128:131], a[92:93], a[12:13], v[128:131]// 000000009088: D3F30080 1E02195C
	ds_read_b128 a[64:67], v2 offset:22272                     // 000000009090: DBFE5700 40000002
	ds_read_b128 a[68:71], v2 offset:22336                     // 000000009098: DBFE5740 44000002
	v_mfma_f32_16x16x32_fp8_fp8 v[128:131], a[94:95], a[14:15], v[128:131]// 0000000090A0: D3F30080 1E021D5E
	v_mfma_f32_16x16x32_fp8_fp8 v[112:115], a[80:81], a[16:17], v[112:115]// 0000000090A8: D3F30070 1DC22150
	v_mfma_f32_16x16x32_fp8_fp8 v[112:115], a[82:83], a[18:19], v[112:115]// 0000000090B0: D3F30070 1DC22552
	v_mfma_f32_16x16x32_fp8_fp8 v[112:115], a[84:85], a[20:21], v[112:115]// 0000000090B8: D3F30070 1DC22954
	ds_read_b128 a[72:75], v2 offset:22784                     // 0000000090C0: DBFE5900 48000002
	ds_read_b128 a[76:79], v2 offset:22848                     // 0000000090C8: DBFE5940 4C000002
	v_mfma_f32_16x16x32_fp8_fp8 v[112:115], a[86:87], a[22:23], v[112:115]// 0000000090D0: D3F30070 1DC22D56
	v_mfma_f32_16x16x32_fp8_fp8 v[132:135], a[88:89], a[16:17], v[132:135]// 0000000090D8: D3F30084 1E122158
	v_mfma_f32_16x16x32_fp8_fp8 v[132:135], a[90:91], a[18:19], v[132:135]// 0000000090E0: D3F30084 1E12255A
	v_mfma_f32_16x16x32_fp8_fp8 v[132:135], a[92:93], a[20:21], v[132:135]// 0000000090E8: D3F30084 1E12295C
	v_mfma_f32_16x16x32_fp8_fp8 v[132:135], a[94:95], a[22:23], v[132:135]// 0000000090F0: D3F30084 1E122D5E
	v_mfma_f32_16x16x32_fp8_fp8 v[116:119], a[80:81], a[24:25], v[116:119]// 0000000090F8: D3F30074 1DD23150
	v_mfma_f32_16x16x32_fp8_fp8 v[116:119], a[82:83], a[26:27], v[116:119]// 000000009100: D3F30074 1DD23552
	v_mfma_f32_16x16x32_fp8_fp8 v[116:119], a[84:85], a[28:29], v[116:119]// 000000009108: D3F30074 1DD23954
	v_mfma_f32_16x16x32_fp8_fp8 v[116:119], a[86:87], a[30:31], v[116:119]// 000000009110: D3F30074 1DD23D56
	v_mfma_f32_16x16x32_fp8_fp8 v[136:139], a[88:89], a[24:25], v[136:139]// 000000009118: D3F30088 1E223158
	v_mfma_f32_16x16x32_fp8_fp8 v[136:139], a[90:91], a[26:27], v[136:139]// 000000009120: D3F30088 1E22355A
	v_mfma_f32_16x16x32_fp8_fp8 v[136:139], a[92:93], a[28:29], v[136:139]// 000000009128: D3F30088 1E22395C
	v_mfma_f32_16x16x32_fp8_fp8 v[136:139], a[94:95], a[30:31], v[136:139]// 000000009130: D3F30088 1E223D5E
	v_mfma_f32_16x16x32_fp8_fp8 v[120:123], a[80:81], a[32:33], v[120:123]// 000000009138: D3F30078 1DE24150
	s_add_u32 s60, 0x180, s80                                  // 000000009140: 803C50FF 00000180
	s_cmp_lt_u32 s60, s81                                      // 000000009148: BF0A513C
	s_cselect_b32 s57, s57, 0                                  // 00000000914C: 85398039
	v_mfma_f32_16x16x32_fp8_fp8 v[120:123], a[82:83], a[34:35], v[120:123]// 000000009150: D3F30078 1DE24552
	s_add_u32 s60, 0x100, s80                                  // 000000009158: 803C50FF 00000100
	s_cmp_lt_u32 s60, s81                                      // 000000009160: BF0A513C
	s_cselect_b32 s58, s58, 0                                  // 000000009164: 853A803A
	v_mfma_f32_16x16x32_fp8_fp8 v[120:123], a[84:85], a[36:37], v[120:123]// 000000009168: D3F30078 1DE24954
	s_add_u32 s60, 0x100, s80                                  // 000000009170: 803C50FF 00000100
	s_cmp_lt_u32 s60, s81                                      // 000000009178: BF0A513C
	s_cselect_b32 s83, s83, 0                                  // 00000000917C: 85538053
	v_mfma_f32_16x16x32_fp8_fp8 v[120:123], a[86:87], a[38:39], v[120:123]// 000000009180: D3F30078 1DE24D56
	s_add_u32 s24, s58, s24                                    // 000000009188: 8018183A
	s_addc_u32 s25, 0, s25                                     // 00000000918C: 82191980
	v_mfma_f32_16x16x32_fp8_fp8 v[140:143], a[88:89], a[32:33], v[140:143]// 000000009190: D3F3008C 1E324158
	s_add_u32 s20, s57, s20                                    // 000000009198: 80141439
	s_addc_u32 s21, 0, s21                                     // 00000000919C: 82151580
	v_mfma_f32_16x16x32_fp8_fp8 v[140:143], a[90:91], a[34:35], v[140:143]// 0000000091A0: D3F3008C 1E32455A
	s_add_u32 s84, s83, s84                                    // 0000000091A8: 80545453
	s_addc_u32 s85, 0, s85                                     // 0000000091AC: 82555580
	v_mfma_f32_16x16x32_fp8_fp8 v[140:143], a[92:93], a[36:37], v[140:143]// 0000000091B0: D3F3008C 1E32495C
	v_mfma_f32_16x16x32_fp8_fp8 v[140:143], a[94:95], a[38:39], v[140:143]// 0000000091B8: D3F3008C 1E324D5E
	s_addk_i32 s80, 0x80                                       // 0000000091C0: B7500080
	s_cmp_lt_i32 s80, s81                                      // 0000000091C4: BF045150
	s_cbranch_scc0 label_1AFA                                  // 0000000091C8: BF840104
	s_waitcnt vmcnt(14) lgkmcnt(0)                             // 0000000091CC: BF8C007E
	v_mfma_f32_16x16x32_fp8_fp8 v[64:67], a[96:97], a[40:41], v[64:67]// 0000000091D0: D3F30040 1D025160
	buffer_load_dwordx4 a[80:83], v60, s[24:27], 0 offen       // 0000000091D8: E05C1000 8086503C
	v_mfma_f32_16x16x32_fp8_fp8 v[64:67], a[98:99], a[42:43], v[64:67]// 0000000091E0: D3F30040 1D025562
	v_mfma_f32_16x16x32_fp8_fp8 v[64:67], a[100:101], a[44:45], v[64:67]// 0000000091E8: D3F30040 1D025964
	v_mfma_f32_16x16x32_fp8_fp8 v[64:67], a[102:103], a[46:47], v[64:67]// 0000000091F0: D3F30040 1D025D66
	v_mfma_f32_16x16x32_fp8_fp8 v[84:87], a[104:105], a[40:41], v[84:87]// 0000000091F8: D3F30054 1D525168
	buffer_load_dwordx4 a[84:87], v60, s[24:27], 0 offen offset:1024// 000000009200: E05C1400 8086543C
	v_mfma_f32_16x16x32_fp8_fp8 v[84:87], a[106:107], a[42:43], v[84:87]// 000000009208: D3F30054 1D52556A
	v_mfma_f32_16x16x32_fp8_fp8 v[84:87], a[108:109], a[44:45], v[84:87]// 000000009210: D3F30054 1D52596C
	v_mfma_f32_16x16x32_fp8_fp8 v[84:87], a[110:111], a[46:47], v[84:87]// 000000009218: D3F30054 1D525D6E
	v_mfma_f32_16x16x32_fp8_fp8 v[68:71], a[96:97], a[48:49], v[68:71]// 000000009220: D3F30044 1D126160
	buffer_load_dwordx4 a[88:91], v61, s[24:27], 0 offen       // 000000009228: E05C1000 8086583D
	v_mfma_f32_16x16x32_fp8_fp8 v[68:71], a[98:99], a[50:51], v[68:71]// 000000009230: D3F30044 1D126562
	v_mfma_f32_16x16x32_fp8_fp8 v[68:71], a[100:101], a[52:53], v[68:71]// 000000009238: D3F30044 1D126964
	v_mfma_f32_16x16x32_fp8_fp8 v[68:71], a[102:103], a[54:55], v[68:71]// 000000009240: D3F30044 1D126D66
	v_mfma_f32_16x16x32_fp8_fp8 v[88:91], a[104:105], a[48:49], v[88:91]// 000000009248: D3F30058 1D626168
	buffer_load_dwordx4 a[92:95], v61, s[24:27], 0 offen offset:1024// 000000009250: E05C1400 80865C3D
	buffer_load_dword v50, s[20:23], 0 offen lds               // 000000009258: E0511000 80050032
	s_add_u32 m0, 0x100, s49                                   // 000000009260: 807C31FF 00000100
	v_mfma_f32_16x16x32_fp8_fp8 v[88:91], a[106:107], a[50:51], v[88:91]// 000000009268: D3F30058 1D62656A
	v_mfma_f32_16x16x32_fp8_fp8 v[88:91], a[108:109], a[52:53], v[88:91]// 000000009270: D3F30058 1D62696C
	buffer_load_dword v51, s[20:23], 0 offen lds               // 000000009278: E0511000 80050033
	s_add_u32 m0, 0x200, s49                                   // 000000009280: 807C31FF 00000200
	v_mfma_f32_16x16x32_fp8_fp8 v[88:91], a[110:111], a[54:55], v[88:91]// 000000009288: D3F30058 1D626D6E
	v_mfma_f32_16x16x32_fp8_fp8 v[72:75], a[96:97], a[56:57], v[72:75]// 000000009290: D3F30048 1D227160
	buffer_load_dword v52, s[20:23], 0 offen lds               // 000000009298: E0511000 80050034
	s_add_u32 m0, 0x300, s49                                   // 0000000092A0: 807C31FF 00000300
	v_mfma_f32_16x16x32_fp8_fp8 v[72:75], a[98:99], a[58:59], v[72:75]// 0000000092A8: D3F30048 1D227562
	v_mfma_f32_16x16x32_fp8_fp8 v[72:75], a[100:101], a[60:61], v[72:75]// 0000000092B0: D3F30048 1D227964
	buffer_load_dword v53, s[20:23], 0 offen lds               // 0000000092B8: E0511000 80050035
	s_add_u32 m0, 0x400, s49                                   // 0000000092C0: 807C31FF 00000400
	v_mfma_f32_16x16x32_fp8_fp8 v[72:75], a[102:103], a[62:63], v[72:75]// 0000000092C8: D3F30048 1D227D66
	v_mfma_f32_16x16x32_fp8_fp8 v[92:95], a[104:105], a[56:57], v[92:95]// 0000000092D0: D3F3005C 1D727168
	buffer_load_dword v54, s[20:23], 0 offen lds               // 0000000092D8: E0511000 80050036
	s_add_u32 m0, 0x500, s49                                   // 0000000092E0: 807C31FF 00000500
	v_mfma_f32_16x16x32_fp8_fp8 v[92:95], a[106:107], a[58:59], v[92:95]// 0000000092E8: D3F3005C 1D72756A
	v_mfma_f32_16x16x32_fp8_fp8 v[92:95], a[108:109], a[60:61], v[92:95]// 0000000092F0: D3F3005C 1D72796C
	buffer_load_dword v55, s[20:23], 0 offen lds               // 0000000092F8: E0511000 80050037
	s_add_u32 m0, 0x600, s49                                   // 000000009300: 807C31FF 00000600
	v_mfma_f32_16x16x32_fp8_fp8 v[92:95], a[110:111], a[62:63], v[92:95]// 000000009308: D3F3005C 1D727D6E
	v_mfma_f32_16x16x32_fp8_fp8 v[76:79], a[96:97], a[64:65], v[76:79]// 000000009310: D3F3004C 1D328160
	buffer_load_dword v56, s[20:23], 0 offen lds               // 000000009318: E0511000 80050038
	s_add_u32 m0, 0x700, s49                                   // 000000009320: 807C31FF 00000700
	v_mfma_f32_16x16x32_fp8_fp8 v[76:79], a[98:99], a[66:67], v[76:79]// 000000009328: D3F3004C 1D328562
	v_mfma_f32_16x16x32_fp8_fp8 v[76:79], a[100:101], a[68:69], v[76:79]// 000000009330: D3F3004C 1D328964
	buffer_load_dword v57, s[20:23], 0 offen lds               // 000000009338: E0511000 80050039
	s_add_u32 m0, 0x800, s49                                   // 000000009340: 807C31FF 00000800
	v_mfma_f32_16x16x32_fp8_fp8 v[76:79], a[102:103], a[70:71], v[76:79]// 000000009348: D3F3004C 1D328D66
	v_mfma_f32_16x16x32_fp8_fp8 v[96:99], a[104:105], a[64:65], v[96:99]// 000000009350: D3F30060 1D828168
	buffer_load_dword v58, s[20:23], 0 offen lds               // 000000009358: E0511000 8005003A
	s_add_u32 m0, 0x900, s49                                   // 000000009360: 807C31FF 00000900
	v_mfma_f32_16x16x32_fp8_fp8 v[96:99], a[106:107], a[66:67], v[96:99]// 000000009368: D3F30060 1D82856A
	v_mfma_f32_16x16x32_fp8_fp8 v[96:99], a[108:109], a[68:69], v[96:99]// 000000009370: D3F30060 1D82896C
	buffer_load_dword v59, s[20:23], 0 offen lds               // 000000009378: E0511000 8005003B
	s_add_u32 m0, 0, s50                                       // 000000009380: 807C3280
	v_mfma_f32_16x16x32_fp8_fp8 v[96:99], a[110:111], a[70:71], v[96:99]// 000000009384: D3F30060 1D828D6E
	v_mfma_f32_16x16x32_fp8_fp8 v[80:83], a[96:97], a[72:73], v[80:83]// 00000000938C: D3F30050 1D429160
	v_mfma_f32_16x16x32_fp8_fp8 v[80:83], a[98:99], a[74:75], v[80:83]// 000000009394: D3F30050 1D429562
	v_mfma_f32_16x16x32_fp8_fp8 v[80:83], a[100:101], a[76:77], v[80:83]// 00000000939C: D3F30050 1D429964
	v_mfma_f32_16x16x32_fp8_fp8 v[80:83], a[102:103], a[78:79], v[80:83]// 0000000093A4: D3F30050 1D429D66
	v_mfma_f32_16x16x32_fp8_fp8 v[100:103], a[104:105], a[72:73], v[100:103]// 0000000093AC: D3F30064 1D929168
	v_mfma_f32_16x16x32_fp8_fp8 v[100:103], a[106:107], a[74:75], v[100:103]// 0000000093B4: D3F30064 1D92956A
	v_mfma_f32_16x16x32_fp8_fp8 v[100:103], a[108:109], a[76:77], v[100:103]// 0000000093BC: D3F30064 1D92996C
	v_mfma_f32_16x16x32_fp8_fp8 v[100:103], a[110:111], a[78:79], v[100:103]// 0000000093C4: D3F30064 1D929D6E
	s_waitcnt vmcnt(14)                                        // 0000000093CC: BF8C0F7E
	s_barrier                                                  // 0000000093D0: BF8A0000
	v_mfma_f32_16x16x32_fp8_fp8 v[104:107], a[112:113], a[40:41], v[104:107]// 0000000093D4: D3F30068 1DA25170
	buffer_load_dwordx4 a[96:99], v60, s[84:87], 0 offen       // 0000000093DC: E05C1000 8095603C
	v_mfma_f32_16x16x32_fp8_fp8 v[104:107], a[114:115], a[42:43], v[104:107]// 0000000093E4: D3F30068 1DA25572
	v_mfma_f32_16x16x32_fp8_fp8 v[104:107], a[116:117], a[44:45], v[104:107]// 0000000093EC: D3F30068 1DA25974
	ds_read_b128 a[0:3], v2                                    // 0000000093F4: DBFE0000 00000002
	ds_read_b128 a[4:7], v2 offset:64                          // 0000000093FC: DBFE0040 04000002
	v_mfma_f32_16x16x32_fp8_fp8 v[104:107], a[118:119], a[46:47], v[104:107]// 000000009404: D3F30068 1DA25D76
	v_mfma_f32_16x16x32_fp8_fp8 v[124:127], a[120:121], a[40:41], v[124:127]// 00000000940C: D3F3007C 1DF25178
	buffer_load_dwordx4 a[100:103], v60, s[84:87], 0 offen offset:1024// 000000009414: E05C1400 8095643C
	v_mfma_f32_16x16x32_fp8_fp8 v[124:127], a[122:123], a[42:43], v[124:127]// 00000000941C: D3F3007C 1DF2557A
	v_mfma_f32_16x16x32_fp8_fp8 v[124:127], a[124:125], a[44:45], v[124:127]// 000000009424: D3F3007C 1DF2597C
	ds_read_b128 a[8:11], v2 offset:512                        // 00000000942C: DBFE0200 08000002
	ds_read_b128 a[12:15], v2 offset:576                       // 000000009434: DBFE0240 0C000002
	v_mfma_f32_16x16x32_fp8_fp8 v[124:127], a[126:127], a[46:47], v[124:127]// 00000000943C: D3F3007C 1DF25D7E
	v_mfma_f32_16x16x32_fp8_fp8 v[108:111], a[112:113], a[48:49], v[108:111]// 000000009444: D3F3006C 1DB26170
	buffer_load_dwordx4 a[104:107], v61, s[84:87], 0 offen     // 00000000944C: E05C1000 8095683D
	v_mfma_f32_16x16x32_fp8_fp8 v[108:111], a[114:115], a[50:51], v[108:111]// 000000009454: D3F3006C 1DB26572
	v_mfma_f32_16x16x32_fp8_fp8 v[108:111], a[116:117], a[52:53], v[108:111]// 00000000945C: D3F3006C 1DB26974
	ds_read_b128 a[16:19], v2 offset:1024                      // 000000009464: DBFE0400 10000002
	ds_read_b128 a[20:23], v2 offset:1088                      // 00000000946C: DBFE0440 14000002
	v_mfma_f32_16x16x32_fp8_fp8 v[108:111], a[118:119], a[54:55], v[108:111]// 000000009474: D3F3006C 1DB26D76
	v_mfma_f32_16x16x32_fp8_fp8 v[128:131], a[120:121], a[48:49], v[128:131]// 00000000947C: D3F30080 1E026178
	buffer_load_dwordx4 a[108:111], v61, s[84:87], 0 offen offset:1024// 000000009484: E05C1400 80956C3D
	v_mfma_f32_16x16x32_fp8_fp8 v[128:131], a[122:123], a[50:51], v[128:131]// 00000000948C: D3F30080 1E02657A
	v_mfma_f32_16x16x32_fp8_fp8 v[128:131], a[124:125], a[52:53], v[128:131]// 000000009494: D3F30080 1E02697C
	ds_read_b128 a[24:27], v2 offset:1536                      // 00000000949C: DBFE0600 18000002
	ds_read_b128 a[28:31], v2 offset:1600                      // 0000000094A4: DBFE0640 1C000002
	v_mfma_f32_16x16x32_fp8_fp8 v[128:131], a[126:127], a[54:55], v[128:131]// 0000000094AC: D3F30080 1E026D7E
	v_mfma_f32_16x16x32_fp8_fp8 v[112:115], a[112:113], a[56:57], v[112:115]// 0000000094B4: D3F30070 1DC27170
	v_mfma_f32_16x16x32_fp8_fp8 v[112:115], a[114:115], a[58:59], v[112:115]// 0000000094BC: D3F30070 1DC27572
	v_mfma_f32_16x16x32_fp8_fp8 v[112:115], a[116:117], a[60:61], v[112:115]// 0000000094C4: D3F30070 1DC27974
	ds_read_b128 a[32:35], v2 offset:2048                      // 0000000094CC: DBFE0800 20000002
	ds_read_b128 a[36:39], v2 offset:2112                      // 0000000094D4: DBFE0840 24000002
	v_mfma_f32_16x16x32_fp8_fp8 v[112:115], a[118:119], a[62:63], v[112:115]// 0000000094DC: D3F30070 1DC27D76
	v_mfma_f32_16x16x32_fp8_fp8 v[132:135], a[120:121], a[56:57], v[132:135]// 0000000094E4: D3F30084 1E127178
	v_mfma_f32_16x16x32_fp8_fp8 v[132:135], a[122:123], a[58:59], v[132:135]// 0000000094EC: D3F30084 1E12757A
	v_mfma_f32_16x16x32_fp8_fp8 v[132:135], a[124:125], a[60:61], v[132:135]// 0000000094F4: D3F30084 1E12797C
	v_mfma_f32_16x16x32_fp8_fp8 v[132:135], a[126:127], a[62:63], v[132:135]// 0000000094FC: D3F30084 1E127D7E
	v_mfma_f32_16x16x32_fp8_fp8 v[116:119], a[112:113], a[64:65], v[116:119]// 000000009504: D3F30074 1DD28170
	v_mfma_f32_16x16x32_fp8_fp8 v[116:119], a[114:115], a[66:67], v[116:119]// 00000000950C: D3F30074 1DD28572
	v_mfma_f32_16x16x32_fp8_fp8 v[116:119], a[116:117], a[68:69], v[116:119]// 000000009514: D3F30074 1DD28974
	v_mfma_f32_16x16x32_fp8_fp8 v[116:119], a[118:119], a[70:71], v[116:119]// 00000000951C: D3F30074 1DD28D76
	v_mfma_f32_16x16x32_fp8_fp8 v[136:139], a[120:121], a[64:65], v[136:139]// 000000009524: D3F30088 1E228178
	v_mfma_f32_16x16x32_fp8_fp8 v[136:139], a[122:123], a[66:67], v[136:139]// 00000000952C: D3F30088 1E22857A
	v_mfma_f32_16x16x32_fp8_fp8 v[136:139], a[124:125], a[68:69], v[136:139]// 000000009534: D3F30088 1E22897C
	v_mfma_f32_16x16x32_fp8_fp8 v[136:139], a[126:127], a[70:71], v[136:139]// 00000000953C: D3F30088 1E228D7E
	v_mfma_f32_16x16x32_fp8_fp8 v[120:123], a[112:113], a[72:73], v[120:123]// 000000009544: D3F30078 1DE29170
	s_add_u32 s60, 0x180, s80                                  // 00000000954C: 803C50FF 00000180
	s_cmp_lt_u32 s60, s81                                      // 000000009554: BF0A513C
	s_cselect_b32 s57, s57, 0                                  // 000000009558: 85398039
	v_mfma_f32_16x16x32_fp8_fp8 v[120:123], a[114:115], a[74:75], v[120:123]// 00000000955C: D3F30078 1DE29572
	s_add_u32 s60, 0x100, s80                                  // 000000009564: 803C50FF 00000100
	s_cmp_lt_u32 s60, s81                                      // 00000000956C: BF0A513C
	s_cselect_b32 s58, s58, 0                                  // 000000009570: 853A803A
	v_mfma_f32_16x16x32_fp8_fp8 v[120:123], a[116:117], a[76:77], v[120:123]// 000000009574: D3F30078 1DE29974
	s_add_u32 s60, 0x100, s80                                  // 00000000957C: 803C50FF 00000100
	s_cmp_lt_u32 s60, s81                                      // 000000009584: BF0A513C
	s_cselect_b32 s83, s83, 0                                  // 000000009588: 85538053
	v_mfma_f32_16x16x32_fp8_fp8 v[120:123], a[118:119], a[78:79], v[120:123]// 00000000958C: D3F30078 1DE29D76
	s_add_u32 s24, s58, s24                                    // 000000009594: 8018183A
	s_addc_u32 s25, 0, s25                                     // 000000009598: 82191980
	v_mfma_f32_16x16x32_fp8_fp8 v[140:143], a[120:121], a[72:73], v[140:143]// 00000000959C: D3F3008C 1E329178
	s_add_u32 s20, s57, s20                                    // 0000000095A4: 80141439
	s_addc_u32 s21, 0, s21                                     // 0000000095A8: 82151580
	v_mfma_f32_16x16x32_fp8_fp8 v[140:143], a[122:123], a[74:75], v[140:143]// 0000000095AC: D3F3008C 1E32957A
	s_add_u32 s84, s83, s84                                    // 0000000095B4: 80545453
	s_addc_u32 s85, 0, s85                                     // 0000000095B8: 82555580
	v_mfma_f32_16x16x32_fp8_fp8 v[140:143], a[124:125], a[76:77], v[140:143]// 0000000095BC: D3F3008C 1E32997C
	v_mfma_f32_16x16x32_fp8_fp8 v[140:143], a[126:127], a[78:79], v[140:143]// 0000000095C4: D3F3008C 1E329D7E
	s_addk_i32 s80, 0x80                                       // 0000000095CC: B7500080
	s_cmp_lt_i32 s80, s81                                      // 0000000095D0: BF045150
	s_cbranch_scc0 label_1AFA                                  // 0000000095D4: BF840001
	s_branch label_14E7                                        // 0000000095D8: BF82F9ED

00000000000095dc <label_1AFA>:
	v_mul_f32_dpp v64, v24, v64 row_newbcast:0 row_mask:0xf bank_mask:0xf// 0000000095DC: 0A8080FA FF015018
	v_mul_f32_dpp v65, v24, v65 row_newbcast:1 row_mask:0xf bank_mask:0xf// 0000000095E4: 0A8282FA FF015118
	v_mul_f32_dpp v66, v24, v66 row_newbcast:2 row_mask:0xf bank_mask:0xf// 0000000095EC: 0A8484FA FF015218
	v_mul_f32_dpp v67, v24, v67 row_newbcast:3 row_mask:0xf bank_mask:0xf// 0000000095F4: 0A8686FA FF015318
	v_mul_f32_dpp v68, v24, v68 row_newbcast:0 row_mask:0xf bank_mask:0xf// 0000000095FC: 0A8888FA FF015018
	v_mul_f32_dpp v69, v24, v69 row_newbcast:1 row_mask:0xf bank_mask:0xf// 000000009604: 0A8A8AFA FF015118
	v_mul_f32_dpp v70, v24, v70 row_newbcast:2 row_mask:0xf bank_mask:0xf// 00000000960C: 0A8C8CFA FF015218
	v_mul_f32_dpp v71, v24, v71 row_newbcast:3 row_mask:0xf bank_mask:0xf// 000000009614: 0A8E8EFA FF015318
	v_mul_f32_dpp v72, v24, v72 row_newbcast:0 row_mask:0xf bank_mask:0xf// 00000000961C: 0A9090FA FF015018
	v_mul_f32_dpp v73, v24, v73 row_newbcast:1 row_mask:0xf bank_mask:0xf// 000000009624: 0A9292FA FF015118
	v_mul_f32_dpp v74, v24, v74 row_newbcast:2 row_mask:0xf bank_mask:0xf// 00000000962C: 0A9494FA FF015218
	v_mul_f32_dpp v75, v24, v75 row_newbcast:3 row_mask:0xf bank_mask:0xf// 000000009634: 0A9696FA FF015318
	v_mul_f32_dpp v76, v24, v76 row_newbcast:0 row_mask:0xf bank_mask:0xf// 00000000963C: 0A9898FA FF015018
	v_mul_f32_dpp v77, v24, v77 row_newbcast:1 row_mask:0xf bank_mask:0xf// 000000009644: 0A9A9AFA FF015118
	v_mul_f32_dpp v78, v24, v78 row_newbcast:2 row_mask:0xf bank_mask:0xf// 00000000964C: 0A9C9CFA FF015218
	v_mul_f32_dpp v79, v24, v79 row_newbcast:3 row_mask:0xf bank_mask:0xf// 000000009654: 0A9E9EFA FF015318
	v_mul_f32_dpp v80, v24, v80 row_newbcast:0 row_mask:0xf bank_mask:0xf// 00000000965C: 0AA0A0FA FF015018
	v_mul_f32_dpp v81, v24, v81 row_newbcast:1 row_mask:0xf bank_mask:0xf// 000000009664: 0AA2A2FA FF015118
	v_mul_f32_dpp v82, v24, v82 row_newbcast:2 row_mask:0xf bank_mask:0xf// 00000000966C: 0AA4A4FA FF015218
	v_mul_f32_dpp v83, v24, v83 row_newbcast:3 row_mask:0xf bank_mask:0xf// 000000009674: 0AA6A6FA FF015318
	v_mul_f32_dpp v84, v24, v84 row_newbcast:4 row_mask:0xf bank_mask:0xf// 00000000967C: 0AA8A8FA FF015418
	v_mul_f32_dpp v85, v24, v85 row_newbcast:5 row_mask:0xf bank_mask:0xf// 000000009684: 0AAAAAFA FF015518
	v_mul_f32_dpp v86, v24, v86 row_newbcast:6 row_mask:0xf bank_mask:0xf// 00000000968C: 0AACACFA FF015618
	v_mul_f32_dpp v87, v24, v87 row_newbcast:7 row_mask:0xf bank_mask:0xf// 000000009694: 0AAEAEFA FF015718
	v_mul_f32_dpp v88, v24, v88 row_newbcast:4 row_mask:0xf bank_mask:0xf// 00000000969C: 0AB0B0FA FF015418
	v_mul_f32_dpp v89, v24, v89 row_newbcast:5 row_mask:0xf bank_mask:0xf// 0000000096A4: 0AB2B2FA FF015518
	v_mul_f32_dpp v90, v24, v90 row_newbcast:6 row_mask:0xf bank_mask:0xf// 0000000096AC: 0AB4B4FA FF015618
	v_mul_f32_dpp v91, v24, v91 row_newbcast:7 row_mask:0xf bank_mask:0xf// 0000000096B4: 0AB6B6FA FF015718
	v_mul_f32_dpp v92, v24, v92 row_newbcast:4 row_mask:0xf bank_mask:0xf// 0000000096BC: 0AB8B8FA FF015418
	v_mul_f32_dpp v93, v24, v93 row_newbcast:5 row_mask:0xf bank_mask:0xf// 0000000096C4: 0ABABAFA FF015518
	v_mul_f32_dpp v94, v24, v94 row_newbcast:6 row_mask:0xf bank_mask:0xf// 0000000096CC: 0ABCBCFA FF015618
	v_mul_f32_dpp v95, v24, v95 row_newbcast:7 row_mask:0xf bank_mask:0xf// 0000000096D4: 0ABEBEFA FF015718
	v_mul_f32_dpp v96, v24, v96 row_newbcast:4 row_mask:0xf bank_mask:0xf// 0000000096DC: 0AC0C0FA FF015418
	v_mul_f32_dpp v97, v24, v97 row_newbcast:5 row_mask:0xf bank_mask:0xf// 0000000096E4: 0AC2C2FA FF015518
	v_mul_f32_dpp v98, v24, v98 row_newbcast:6 row_mask:0xf bank_mask:0xf// 0000000096EC: 0AC4C4FA FF015618
	v_mul_f32_dpp v99, v24, v99 row_newbcast:7 row_mask:0xf bank_mask:0xf// 0000000096F4: 0AC6C6FA FF015718
	v_mul_f32_dpp v100, v24, v100 row_newbcast:4 row_mask:0xf bank_mask:0xf// 0000000096FC: 0AC8C8FA FF015418
	v_mul_f32_dpp v101, v24, v101 row_newbcast:5 row_mask:0xf bank_mask:0xf// 000000009704: 0ACACAFA FF015518
	v_mul_f32_dpp v102, v24, v102 row_newbcast:6 row_mask:0xf bank_mask:0xf// 00000000970C: 0ACCCCFA FF015618
	v_mul_f32_dpp v103, v24, v103 row_newbcast:7 row_mask:0xf bank_mask:0xf// 000000009714: 0ACECEFA FF015718
	v_mul_f32_dpp v104, v27, v104 row_newbcast:0 row_mask:0xf bank_mask:0xf// 00000000971C: 0AD0D0FA FF01501B
	v_mul_f32_dpp v105, v27, v105 row_newbcast:1 row_mask:0xf bank_mask:0xf// 000000009724: 0AD2D2FA FF01511B
	v_mul_f32_dpp v106, v27, v106 row_newbcast:2 row_mask:0xf bank_mask:0xf// 00000000972C: 0AD4D4FA FF01521B
	v_mul_f32_dpp v107, v27, v107 row_newbcast:3 row_mask:0xf bank_mask:0xf// 000000009734: 0AD6D6FA FF01531B
	v_mul_f32_dpp v108, v27, v108 row_newbcast:0 row_mask:0xf bank_mask:0xf// 00000000973C: 0AD8D8FA FF01501B
	v_mul_f32_dpp v109, v27, v109 row_newbcast:1 row_mask:0xf bank_mask:0xf// 000000009744: 0ADADAFA FF01511B
	v_mul_f32_dpp v110, v27, v110 row_newbcast:2 row_mask:0xf bank_mask:0xf// 00000000974C: 0ADCDCFA FF01521B
	v_mul_f32_dpp v111, v27, v111 row_newbcast:3 row_mask:0xf bank_mask:0xf// 000000009754: 0ADEDEFA FF01531B
	v_mul_f32_dpp v112, v27, v112 row_newbcast:0 row_mask:0xf bank_mask:0xf// 00000000975C: 0AE0E0FA FF01501B
	v_mul_f32_dpp v113, v27, v113 row_newbcast:1 row_mask:0xf bank_mask:0xf// 000000009764: 0AE2E2FA FF01511B
	v_mul_f32_dpp v114, v27, v114 row_newbcast:2 row_mask:0xf bank_mask:0xf// 00000000976C: 0AE4E4FA FF01521B
	v_mul_f32_dpp v115, v27, v115 row_newbcast:3 row_mask:0xf bank_mask:0xf// 000000009774: 0AE6E6FA FF01531B
	v_mul_f32_dpp v116, v27, v116 row_newbcast:0 row_mask:0xf bank_mask:0xf// 00000000977C: 0AE8E8FA FF01501B
	v_mul_f32_dpp v117, v27, v117 row_newbcast:1 row_mask:0xf bank_mask:0xf// 000000009784: 0AEAEAFA FF01511B
	v_mul_f32_dpp v118, v27, v118 row_newbcast:2 row_mask:0xf bank_mask:0xf// 00000000978C: 0AECECFA FF01521B
	v_mul_f32_dpp v119, v27, v119 row_newbcast:3 row_mask:0xf bank_mask:0xf// 000000009794: 0AEEEEFA FF01531B
	v_mul_f32_dpp v120, v27, v120 row_newbcast:0 row_mask:0xf bank_mask:0xf// 00000000979C: 0AF0F0FA FF01501B
	v_mul_f32_dpp v121, v27, v121 row_newbcast:1 row_mask:0xf bank_mask:0xf// 0000000097A4: 0AF2F2FA FF01511B
	v_mul_f32_dpp v122, v27, v122 row_newbcast:2 row_mask:0xf bank_mask:0xf// 0000000097AC: 0AF4F4FA FF01521B
	v_mul_f32_dpp v123, v27, v123 row_newbcast:3 row_mask:0xf bank_mask:0xf// 0000000097B4: 0AF6F6FA FF01531B
	v_mul_f32_dpp v124, v27, v124 row_newbcast:4 row_mask:0xf bank_mask:0xf// 0000000097BC: 0AF8F8FA FF01541B
	v_mul_f32_dpp v125, v27, v125 row_newbcast:5 row_mask:0xf bank_mask:0xf// 0000000097C4: 0AFAFAFA FF01551B
	v_mul_f32_dpp v126, v27, v126 row_newbcast:6 row_mask:0xf bank_mask:0xf// 0000000097CC: 0AFCFCFA FF01561B
	v_mul_f32_dpp v127, v27, v127 row_newbcast:7 row_mask:0xf bank_mask:0xf// 0000000097D4: 0AFEFEFA FF01571B
	v_mul_f32_dpp v128, v27, v128 row_newbcast:4 row_mask:0xf bank_mask:0xf// 0000000097DC: 0B0100FA FF01541B
	v_mul_f32_dpp v129, v27, v129 row_newbcast:5 row_mask:0xf bank_mask:0xf// 0000000097E4: 0B0302FA FF01551B
	v_mul_f32_dpp v130, v27, v130 row_newbcast:6 row_mask:0xf bank_mask:0xf// 0000000097EC: 0B0504FA FF01561B
	v_mul_f32_dpp v131, v27, v131 row_newbcast:7 row_mask:0xf bank_mask:0xf// 0000000097F4: 0B0706FA FF01571B
	v_mul_f32_dpp v132, v27, v132 row_newbcast:4 row_mask:0xf bank_mask:0xf// 0000000097FC: 0B0908FA FF01541B
	v_mul_f32_dpp v133, v27, v133 row_newbcast:5 row_mask:0xf bank_mask:0xf// 000000009804: 0B0B0AFA FF01551B
	v_mul_f32_dpp v134, v27, v134 row_newbcast:6 row_mask:0xf bank_mask:0xf// 00000000980C: 0B0D0CFA FF01561B
	v_mul_f32_dpp v135, v27, v135 row_newbcast:7 row_mask:0xf bank_mask:0xf// 000000009814: 0B0F0EFA FF01571B
	v_mul_f32_dpp v136, v27, v136 row_newbcast:4 row_mask:0xf bank_mask:0xf// 00000000981C: 0B1110FA FF01541B
	v_mul_f32_dpp v137, v27, v137 row_newbcast:5 row_mask:0xf bank_mask:0xf// 000000009824: 0B1312FA FF01551B
	v_mul_f32_dpp v138, v27, v138 row_newbcast:6 row_mask:0xf bank_mask:0xf// 00000000982C: 0B1514FA FF01561B
	v_mul_f32_dpp v139, v27, v139 row_newbcast:7 row_mask:0xf bank_mask:0xf// 000000009834: 0B1716FA FF01571B
	v_mul_f32_dpp v140, v27, v140 row_newbcast:4 row_mask:0xf bank_mask:0xf// 00000000983C: 0B1918FA FF01541B
	v_mul_f32_dpp v141, v27, v141 row_newbcast:5 row_mask:0xf bank_mask:0xf// 000000009844: 0B1B1AFA FF01551B
	v_mul_f32_dpp v142, v27, v142 row_newbcast:6 row_mask:0xf bank_mask:0xf// 00000000984C: 0B1D1CFA FF01561B
	v_mul_f32_dpp v143, v27, v143 row_newbcast:7 row_mask:0xf bank_mask:0xf// 000000009854: 0B1F1EFA FF01571B
	v_mul_f32_e32 v35, v35, v144                               // 00000000985C: 0A472123
	v_mov_b32_e32 v4, v35                                      // 000000009860: 7E080323
	v_mov_b32_e32 v5, v4                                       // 000000009864: 7E0A0304
	v_pk_mul_f32 v[64:65], v[4:5], v[64:65]                    // 000000009868: D3B14040 18028104
	v_pk_mul_f32 v[104:105], v[4:5], v[104:105]                // 000000009870: D3B14068 1802D104
	v_pk_mul_f32 v[66:67], v[4:5], v[66:67]                    // 000000009878: D3B14042 18028504
	v_pk_mul_f32 v[106:107], v[4:5], v[106:107]                // 000000009880: D3B1406A 1802D504
	v_pk_mul_f32 v[84:85], v[4:5], v[84:85]                    // 000000009888: D3B14054 1802A904
	v_pk_mul_f32 v[124:125], v[4:5], v[124:125]                // 000000009890: D3B1407C 1802F904
	v_pk_mul_f32 v[86:87], v[4:5], v[86:87]                    // 000000009898: D3B14056 1802AD04
	v_pk_mul_f32 v[126:127], v[4:5], v[126:127]                // 0000000098A0: D3B1407E 1802FD04
	v_mul_f32_e32 v36, v36, v145                               // 0000000098A8: 0A492324
	v_mov_b32_e32 v4, v36                                      // 0000000098AC: 7E080324
	v_mov_b32_e32 v5, v4                                       // 0000000098B0: 7E0A0304
	v_pk_mul_f32 v[68:69], v[4:5], v[68:69]                    // 0000000098B4: D3B14044 18028904
	v_pk_mul_f32 v[108:109], v[4:5], v[108:109]                // 0000000098BC: D3B1406C 1802D904
	v_pk_mul_f32 v[70:71], v[4:5], v[70:71]                    // 0000000098C4: D3B14046 18028D04
	v_pk_mul_f32 v[110:111], v[4:5], v[110:111]                // 0000000098CC: D3B1406E 1802DD04
	v_pk_mul_f32 v[88:89], v[4:5], v[88:89]                    // 0000000098D4: D3B14058 1802B104
	v_pk_mul_f32 v[128:129], v[4:5], v[128:129]                // 0000000098DC: D3B14080 18030104
	v_pk_mul_f32 v[90:91], v[4:5], v[90:91]                    // 0000000098E4: D3B1405A 1802B504
	v_pk_mul_f32 v[130:131], v[4:5], v[130:131]                // 0000000098EC: D3B14082 18030504
	v_mul_f32_e32 v37, v37, v146                               // 0000000098F4: 0A4B2525
	v_mov_b32_e32 v4, v37                                      // 0000000098F8: 7E080325
	v_mov_b32_e32 v5, v4                                       // 0000000098FC: 7E0A0304
	v_pk_mul_f32 v[72:73], v[4:5], v[72:73]                    // 000000009900: D3B14048 18029104
	v_pk_mul_f32 v[112:113], v[4:5], v[112:113]                // 000000009908: D3B14070 1802E104
	v_pk_mul_f32 v[74:75], v[4:5], v[74:75]                    // 000000009910: D3B1404A 18029504
	v_pk_mul_f32 v[114:115], v[4:5], v[114:115]                // 000000009918: D3B14072 1802E504
	v_pk_mul_f32 v[92:93], v[4:5], v[92:93]                    // 000000009920: D3B1405C 1802B904
	v_pk_mul_f32 v[132:133], v[4:5], v[132:133]                // 000000009928: D3B14084 18030904
	v_pk_mul_f32 v[94:95], v[4:5], v[94:95]                    // 000000009930: D3B1405E 1802BD04
	v_pk_mul_f32 v[134:135], v[4:5], v[134:135]                // 000000009938: D3B14086 18030D04
	v_mul_f32_e32 v38, v38, v147                               // 000000009940: 0A4D2726
	v_mov_b32_e32 v4, v38                                      // 000000009944: 7E080326
	v_mov_b32_e32 v5, v4                                       // 000000009948: 7E0A0304
	v_pk_mul_f32 v[76:77], v[4:5], v[76:77]                    // 00000000994C: D3B1404C 18029904
	v_pk_mul_f32 v[116:117], v[4:5], v[116:117]                // 000000009954: D3B14074 1802E904
	v_pk_mul_f32 v[78:79], v[4:5], v[78:79]                    // 00000000995C: D3B1404E 18029D04
	v_pk_mul_f32 v[118:119], v[4:5], v[118:119]                // 000000009964: D3B14076 1802ED04
	v_pk_mul_f32 v[96:97], v[4:5], v[96:97]                    // 00000000996C: D3B14060 1802C104
	v_pk_mul_f32 v[136:137], v[4:5], v[136:137]                // 000000009974: D3B14088 18031104
	v_pk_mul_f32 v[98:99], v[4:5], v[98:99]                    // 00000000997C: D3B14062 1802C504
	v_pk_mul_f32 v[138:139], v[4:5], v[138:139]                // 000000009984: D3B1408A 18031504
	v_mul_f32_e32 v39, v39, v148                               // 00000000998C: 0A4F2927
	v_mov_b32_e32 v4, v39                                      // 000000009990: 7E080327
	v_mov_b32_e32 v5, v4                                       // 000000009994: 7E0A0304
	v_pk_mul_f32 v[80:81], v[4:5], v[80:81]                    // 000000009998: D3B14050 1802A104
	v_pk_mul_f32 v[120:121], v[4:5], v[120:121]                // 0000000099A0: D3B14078 1802F104
	v_pk_mul_f32 v[82:83], v[4:5], v[82:83]                    // 0000000099A8: D3B14052 1802A504
	v_pk_mul_f32 v[122:123], v[4:5], v[122:123]                // 0000000099B0: D3B1407A 1802F504
	v_pk_mul_f32 v[100:101], v[4:5], v[100:101]                // 0000000099B8: D3B14064 1802C904
	v_pk_mul_f32 v[140:141], v[4:5], v[140:141]                // 0000000099C0: D3B1408C 18031904
	v_pk_mul_f32 v[102:103], v[4:5], v[102:103]                // 0000000099C8: D3B14066 1802CD04
	v_pk_mul_f32 v[142:143], v[4:5], v[142:143]                // 0000000099D0: D3B1408E 18031D04
	s_cmp_eq_u32 s88, 0                                        // 0000000099D8: BF068058
	s_cbranch_scc0 label_21E4                                  // 0000000099DC: BF8405E9
	s_cmp_eq_u32 s89, 0                                        // 0000000099E0: BF068059
	s_cbranch_scc1 label_1D92                                  // 0000000099E4: BF850195
	v_mov_b32_e32 v8, v1                                       // 0000000099E8: 7E100301
	v_mov_b32_e32 v9, v1                                       // 0000000099EC: 7E120301
	s_mov_b32 s60, s6                                          // 0000000099F0: BEBC0006
	s_mov_b32 s61, s6                                          // 0000000099F4: BEBD0006
	v_pk_mul_f32 v[4:5], v[64:65], v[64:65]                    // 0000000099F8: D3B14004 18028140
	v_pk_mul_f32 v[6:7], v[66:67], v[66:67]                    // 000000009A00: D3B14006 18028542
	v_pk_fma_f32 v[4:5], v[4:5], s[78:79], v[8:9]              // 000000009A08: D3B04004 1C209D04
	v_pk_fma_f32 v[6:7], v[6:7], s[78:79], v[8:9]              // 000000009A10: D3B04006 1C209D06
	v_pk_mul_f32 v[4:5], v[4:5], v[64:65]                      // 000000009A18: D3B14004 18028104
	v_pk_mul_f32 v[6:7], v[6:7], v[66:67]                      // 000000009A20: D3B14006 18028506
	v_pk_mul_f32 v[4:5], v[4:5], s[60:61]                      // 000000009A28: D3B14004 18007904
	v_pk_mul_f32 v[6:7], v[6:7], s[60:61]                      // 000000009A30: D3B14006 18007906
	v_exp_f32_e32 v4, v4                                       // 000000009A38: 7E084104
	v_exp_f32_e32 v5, v5                                       // 000000009A3C: 7E0A4105
	v_exp_f32_e32 v6, v6                                       // 000000009A40: 7E0C4106
	v_exp_f32_e32 v7, v7                                       // 000000009A44: 7E0E4107
	v_add_f32_e64 v4, v4, 1.0                                  // 000000009A48: D1010004 0001E504
	v_add_f32_e64 v5, v5, 1.0                                  // 000000009A50: D1010005 0001E505
	v_add_f32_e64 v6, v6, 1.0                                  // 000000009A58: D1010006 0001E506
	v_add_f32_e64 v7, v7, 1.0                                  // 000000009A60: D1010007 0001E507
	v_rcp_f32_e32 v4, v4                                       // 000000009A68: 7E084504
	v_rcp_f32_e32 v5, v5                                       // 000000009A6C: 7E0A4505
	v_rcp_f32_e32 v6, v6                                       // 000000009A70: 7E0C4506
	v_rcp_f32_e32 v7, v7                                       // 000000009A74: 7E0E4507
	v_mul_f32_e32 v64, v64, v4                                 // 000000009A78: 0A800940
	v_mul_f32_e32 v65, v65, v5                                 // 000000009A7C: 0A820B41
	v_mul_f32_e32 v66, v66, v6                                 // 000000009A80: 0A840D42
	v_mul_f32_e32 v67, v67, v7                                 // 000000009A84: 0A860F43
	v_mul_f32_e32 v64, v64, v104                               // 000000009A88: 0A80D140
	v_mul_f32_e32 v65, v65, v105                               // 000000009A8C: 0A82D341
	v_mul_f32_e32 v66, v66, v106                               // 000000009A90: 0A84D542
	v_mul_f32_e32 v67, v67, v107                               // 000000009A94: 0A86D743
	v_pk_mul_f32 v[4:5], v[68:69], v[68:69]                    // 000000009A98: D3B14004 18028944
	v_pk_mul_f32 v[6:7], v[70:71], v[70:71]                    // 000000009AA0: D3B14006 18028D46
	v_pk_fma_f32 v[4:5], v[4:5], s[78:79], v[8:9]              // 000000009AA8: D3B04004 1C209D04
	v_pk_fma_f32 v[6:7], v[6:7], s[78:79], v[8:9]              // 000000009AB0: D3B04006 1C209D06
	v_pk_mul_f32 v[4:5], v[4:5], v[68:69]                      // 000000009AB8: D3B14004 18028904
	v_pk_mul_f32 v[6:7], v[6:7], v[70:71]                      // 000000009AC0: D3B14006 18028D06
	v_pk_mul_f32 v[4:5], v[4:5], s[60:61]                      // 000000009AC8: D3B14004 18007904
	v_pk_mul_f32 v[6:7], v[6:7], s[60:61]                      // 000000009AD0: D3B14006 18007906
	v_exp_f32_e32 v4, v4                                       // 000000009AD8: 7E084104
	v_exp_f32_e32 v5, v5                                       // 000000009ADC: 7E0A4105
	v_exp_f32_e32 v6, v6                                       // 000000009AE0: 7E0C4106
	v_exp_f32_e32 v7, v7                                       // 000000009AE4: 7E0E4107
	v_add_f32_e64 v4, v4, 1.0                                  // 000000009AE8: D1010004 0001E504
	v_add_f32_e64 v5, v5, 1.0                                  // 000000009AF0: D1010005 0001E505
	v_add_f32_e64 v6, v6, 1.0                                  // 000000009AF8: D1010006 0001E506
	v_add_f32_e64 v7, v7, 1.0                                  // 000000009B00: D1010007 0001E507
	v_rcp_f32_e32 v4, v4                                       // 000000009B08: 7E084504
	v_rcp_f32_e32 v5, v5                                       // 000000009B0C: 7E0A4505
	v_rcp_f32_e32 v6, v6                                       // 000000009B10: 7E0C4506
	v_rcp_f32_e32 v7, v7                                       // 000000009B14: 7E0E4507
	v_mul_f32_e32 v68, v68, v4                                 // 000000009B18: 0A880944
	v_mul_f32_e32 v69, v69, v5                                 // 000000009B1C: 0A8A0B45
	v_mul_f32_e32 v70, v70, v6                                 // 000000009B20: 0A8C0D46
	v_mul_f32_e32 v71, v71, v7                                 // 000000009B24: 0A8E0F47
	v_mul_f32_e32 v68, v68, v108                               // 000000009B28: 0A88D944
	v_mul_f32_e32 v69, v69, v109                               // 000000009B2C: 0A8ADB45
	v_mul_f32_e32 v70, v70, v110                               // 000000009B30: 0A8CDD46
	v_mul_f32_e32 v71, v71, v111                               // 000000009B34: 0A8EDF47
	v_pk_mul_f32 v[4:5], v[72:73], v[72:73]                    // 000000009B38: D3B14004 18029148
	v_pk_mul_f32 v[6:7], v[74:75], v[74:75]                    // 000000009B40: D3B14006 1802954A
	v_pk_fma_f32 v[4:5], v[4:5], s[78:79], v[8:9]              // 000000009B48: D3B04004 1C209D04
	v_pk_fma_f32 v[6:7], v[6:7], s[78:79], v[8:9]              // 000000009B50: D3B04006 1C209D06
	v_pk_mul_f32 v[4:5], v[4:5], v[72:73]                      // 000000009B58: D3B14004 18029104
	v_pk_mul_f32 v[6:7], v[6:7], v[74:75]                      // 000000009B60: D3B14006 18029506
	v_pk_mul_f32 v[4:5], v[4:5], s[60:61]                      // 000000009B68: D3B14004 18007904
	v_pk_mul_f32 v[6:7], v[6:7], s[60:61]                      // 000000009B70: D3B14006 18007906
	v_exp_f32_e32 v4, v4                                       // 000000009B78: 7E084104
	v_exp_f32_e32 v5, v5                                       // 000000009B7C: 7E0A4105
	v_exp_f32_e32 v6, v6                                       // 000000009B80: 7E0C4106
	v_exp_f32_e32 v7, v7                                       // 000000009B84: 7E0E4107
	v_add_f32_e64 v4, v4, 1.0                                  // 000000009B88: D1010004 0001E504
	v_add_f32_e64 v5, v5, 1.0                                  // 000000009B90: D1010005 0001E505
	v_add_f32_e64 v6, v6, 1.0                                  // 000000009B98: D1010006 0001E506
	v_add_f32_e64 v7, v7, 1.0                                  // 000000009BA0: D1010007 0001E507
	v_rcp_f32_e32 v4, v4                                       // 000000009BA8: 7E084504
	v_rcp_f32_e32 v5, v5                                       // 000000009BAC: 7E0A4505
	v_rcp_f32_e32 v6, v6                                       // 000000009BB0: 7E0C4506
	v_rcp_f32_e32 v7, v7                                       // 000000009BB4: 7E0E4507
	v_mul_f32_e32 v72, v72, v4                                 // 000000009BB8: 0A900948
	v_mul_f32_e32 v73, v73, v5                                 // 000000009BBC: 0A920B49
	v_mul_f32_e32 v74, v74, v6                                 // 000000009BC0: 0A940D4A
	v_mul_f32_e32 v75, v75, v7                                 // 000000009BC4: 0A960F4B
	v_mul_f32_e32 v72, v72, v112                               // 000000009BC8: 0A90E148
	v_mul_f32_e32 v73, v73, v113                               // 000000009BCC: 0A92E349
	v_mul_f32_e32 v74, v74, v114                               // 000000009BD0: 0A94E54A
	v_mul_f32_e32 v75, v75, v115                               // 000000009BD4: 0A96E74B
	v_pk_mul_f32 v[4:5], v[76:77], v[76:77]                    // 000000009BD8: D3B14004 1802994C
	v_pk_mul_f32 v[6:7], v[78:79], v[78:79]                    // 000000009BE0: D3B14006 18029D4E
	v_pk_fma_f32 v[4:5], v[4:5], s[78:79], v[8:9]              // 000000009BE8: D3B04004 1C209D04
	v_pk_fma_f32 v[6:7], v[6:7], s[78:79], v[8:9]              // 000000009BF0: D3B04006 1C209D06
	v_pk_mul_f32 v[4:5], v[4:5], v[76:77]                      // 000000009BF8: D3B14004 18029904
	v_pk_mul_f32 v[6:7], v[6:7], v[78:79]                      // 000000009C00: D3B14006 18029D06
	v_pk_mul_f32 v[4:5], v[4:5], s[60:61]                      // 000000009C08: D3B14004 18007904
	v_pk_mul_f32 v[6:7], v[6:7], s[60:61]                      // 000000009C10: D3B14006 18007906
	v_exp_f32_e32 v4, v4                                       // 000000009C18: 7E084104
	v_exp_f32_e32 v5, v5                                       // 000000009C1C: 7E0A4105
	v_exp_f32_e32 v6, v6                                       // 000000009C20: 7E0C4106
	v_exp_f32_e32 v7, v7                                       // 000000009C24: 7E0E4107
	v_add_f32_e64 v4, v4, 1.0                                  // 000000009C28: D1010004 0001E504
	v_add_f32_e64 v5, v5, 1.0                                  // 000000009C30: D1010005 0001E505
	v_add_f32_e64 v6, v6, 1.0                                  // 000000009C38: D1010006 0001E506
	v_add_f32_e64 v7, v7, 1.0                                  // 000000009C40: D1010007 0001E507
	v_rcp_f32_e32 v4, v4                                       // 000000009C48: 7E084504
	v_rcp_f32_e32 v5, v5                                       // 000000009C4C: 7E0A4505
	v_rcp_f32_e32 v6, v6                                       // 000000009C50: 7E0C4506
	v_rcp_f32_e32 v7, v7                                       // 000000009C54: 7E0E4507
	v_mul_f32_e32 v76, v76, v4                                 // 000000009C58: 0A98094C
	v_mul_f32_e32 v77, v77, v5                                 // 000000009C5C: 0A9A0B4D
	v_mul_f32_e32 v78, v78, v6                                 // 000000009C60: 0A9C0D4E
	v_mul_f32_e32 v79, v79, v7                                 // 000000009C64: 0A9E0F4F
	v_mul_f32_e32 v76, v76, v116                               // 000000009C68: 0A98E94C
	v_mul_f32_e32 v77, v77, v117                               // 000000009C6C: 0A9AEB4D
	v_mul_f32_e32 v78, v78, v118                               // 000000009C70: 0A9CED4E
	v_mul_f32_e32 v79, v79, v119                               // 000000009C74: 0A9EEF4F
	v_pk_mul_f32 v[4:5], v[80:81], v[80:81]                    // 000000009C78: D3B14004 1802A150
	v_pk_mul_f32 v[6:7], v[82:83], v[82:83]                    // 000000009C80: D3B14006 1802A552
	v_pk_fma_f32 v[4:5], v[4:5], s[78:79], v[8:9]              // 000000009C88: D3B04004 1C209D04
	v_pk_fma_f32 v[6:7], v[6:7], s[78:79], v[8:9]              // 000000009C90: D3B04006 1C209D06
	v_pk_mul_f32 v[4:5], v[4:5], v[80:81]                      // 000000009C98: D3B14004 1802A104
	v_pk_mul_f32 v[6:7], v[6:7], v[82:83]                      // 000000009CA0: D3B14006 1802A506
	v_pk_mul_f32 v[4:5], v[4:5], s[60:61]                      // 000000009CA8: D3B14004 18007904
	v_pk_mul_f32 v[6:7], v[6:7], s[60:61]                      // 000000009CB0: D3B14006 18007906
	v_exp_f32_e32 v4, v4                                       // 000000009CB8: 7E084104
	v_exp_f32_e32 v5, v5                                       // 000000009CBC: 7E0A4105
	v_exp_f32_e32 v6, v6                                       // 000000009CC0: 7E0C4106
	v_exp_f32_e32 v7, v7                                       // 000000009CC4: 7E0E4107
	v_add_f32_e64 v4, v4, 1.0                                  // 000000009CC8: D1010004 0001E504
	v_add_f32_e64 v5, v5, 1.0                                  // 000000009CD0: D1010005 0001E505
	v_add_f32_e64 v6, v6, 1.0                                  // 000000009CD8: D1010006 0001E506
	v_add_f32_e64 v7, v7, 1.0                                  // 000000009CE0: D1010007 0001E507
	v_rcp_f32_e32 v4, v4                                       // 000000009CE8: 7E084504
	v_rcp_f32_e32 v5, v5                                       // 000000009CEC: 7E0A4505
	v_rcp_f32_e32 v6, v6                                       // 000000009CF0: 7E0C4506
	v_rcp_f32_e32 v7, v7                                       // 000000009CF4: 7E0E4507
	v_mul_f32_e32 v80, v80, v4                                 // 000000009CF8: 0AA00950
	v_mul_f32_e32 v81, v81, v5                                 // 000000009CFC: 0AA20B51
	v_mul_f32_e32 v82, v82, v6                                 // 000000009D00: 0AA40D52
	v_mul_f32_e32 v83, v83, v7                                 // 000000009D04: 0AA60F53
	v_mul_f32_e32 v80, v80, v120                               // 000000009D08: 0AA0F150
	v_mul_f32_e32 v81, v81, v121                               // 000000009D0C: 0AA2F351
	v_mul_f32_e32 v82, v82, v122                               // 000000009D10: 0AA4F552
	v_mul_f32_e32 v83, v83, v123                               // 000000009D14: 0AA6F753
	v_pk_mul_f32 v[4:5], v[84:85], v[84:85]                    // 000000009D18: D3B14004 1802A954
	v_pk_mul_f32 v[6:7], v[86:87], v[86:87]                    // 000000009D20: D3B14006 1802AD56
	v_pk_fma_f32 v[4:5], v[4:5], s[78:79], v[8:9]              // 000000009D28: D3B04004 1C209D04
	v_pk_fma_f32 v[6:7], v[6:7], s[78:79], v[8:9]              // 000000009D30: D3B04006 1C209D06
	v_pk_mul_f32 v[4:5], v[4:5], v[84:85]                      // 000000009D38: D3B14004 1802A904
	v_pk_mul_f32 v[6:7], v[6:7], v[86:87]                      // 000000009D40: D3B14006 1802AD06
	v_pk_mul_f32 v[4:5], v[4:5], s[60:61]                      // 000000009D48: D3B14004 18007904
	v_pk_mul_f32 v[6:7], v[6:7], s[60:61]                      // 000000009D50: D3B14006 18007906
	v_exp_f32_e32 v4, v4                                       // 000000009D58: 7E084104
	v_exp_f32_e32 v5, v5                                       // 000000009D5C: 7E0A4105
	v_exp_f32_e32 v6, v6                                       // 000000009D60: 7E0C4106
	v_exp_f32_e32 v7, v7                                       // 000000009D64: 7E0E4107
	v_add_f32_e64 v4, v4, 1.0                                  // 000000009D68: D1010004 0001E504
	v_add_f32_e64 v5, v5, 1.0                                  // 000000009D70: D1010005 0001E505
	v_add_f32_e64 v6, v6, 1.0                                  // 000000009D78: D1010006 0001E506
	v_add_f32_e64 v7, v7, 1.0                                  // 000000009D80: D1010007 0001E507
	v_rcp_f32_e32 v4, v4                                       // 000000009D88: 7E084504
	v_rcp_f32_e32 v5, v5                                       // 000000009D8C: 7E0A4505
	v_rcp_f32_e32 v6, v6                                       // 000000009D90: 7E0C4506
	v_rcp_f32_e32 v7, v7                                       // 000000009D94: 7E0E4507
	v_mul_f32_e32 v84, v84, v4                                 // 000000009D98: 0AA80954
	v_mul_f32_e32 v85, v85, v5                                 // 000000009D9C: 0AAA0B55
	v_mul_f32_e32 v86, v86, v6                                 // 000000009DA0: 0AAC0D56
	v_mul_f32_e32 v87, v87, v7                                 // 000000009DA4: 0AAE0F57
	v_mul_f32_e32 v84, v84, v124                               // 000000009DA8: 0AA8F954
	v_mul_f32_e32 v85, v85, v125                               // 000000009DAC: 0AAAFB55
	v_mul_f32_e32 v86, v86, v126                               // 000000009DB0: 0AACFD56
	v_mul_f32_e32 v87, v87, v127                               // 000000009DB4: 0AAEFF57
	v_pk_mul_f32 v[4:5], v[88:89], v[88:89]                    // 000000009DB8: D3B14004 1802B158
	v_pk_mul_f32 v[6:7], v[90:91], v[90:91]                    // 000000009DC0: D3B14006 1802B55A
	v_pk_fma_f32 v[4:5], v[4:5], s[78:79], v[8:9]              // 000000009DC8: D3B04004 1C209D04
	v_pk_fma_f32 v[6:7], v[6:7], s[78:79], v[8:9]              // 000000009DD0: D3B04006 1C209D06
	v_pk_mul_f32 v[4:5], v[4:5], v[88:89]                      // 000000009DD8: D3B14004 1802B104
	v_pk_mul_f32 v[6:7], v[6:7], v[90:91]                      // 000000009DE0: D3B14006 1802B506
	v_pk_mul_f32 v[4:5], v[4:5], s[60:61]                      // 000000009DE8: D3B14004 18007904
	v_pk_mul_f32 v[6:7], v[6:7], s[60:61]                      // 000000009DF0: D3B14006 18007906
	v_exp_f32_e32 v4, v4                                       // 000000009DF8: 7E084104
	v_exp_f32_e32 v5, v5                                       // 000000009DFC: 7E0A4105
	v_exp_f32_e32 v6, v6                                       // 000000009E00: 7E0C4106
	v_exp_f32_e32 v7, v7                                       // 000000009E04: 7E0E4107
	v_add_f32_e64 v4, v4, 1.0                                  // 000000009E08: D1010004 0001E504
	v_add_f32_e64 v5, v5, 1.0                                  // 000000009E10: D1010005 0001E505
	v_add_f32_e64 v6, v6, 1.0                                  // 000000009E18: D1010006 0001E506
	v_add_f32_e64 v7, v7, 1.0                                  // 000000009E20: D1010007 0001E507
	v_rcp_f32_e32 v4, v4                                       // 000000009E28: 7E084504
	v_rcp_f32_e32 v5, v5                                       // 000000009E2C: 7E0A4505
	v_rcp_f32_e32 v6, v6                                       // 000000009E30: 7E0C4506
	v_rcp_f32_e32 v7, v7                                       // 000000009E34: 7E0E4507
	v_mul_f32_e32 v88, v88, v4                                 // 000000009E38: 0AB00958
	v_mul_f32_e32 v89, v89, v5                                 // 000000009E3C: 0AB20B59
	v_mul_f32_e32 v90, v90, v6                                 // 000000009E40: 0AB40D5A
	v_mul_f32_e32 v91, v91, v7                                 // 000000009E44: 0AB60F5B
	v_mul_f32_e32 v88, v88, v128                               // 000000009E48: 0AB10158
	v_mul_f32_e32 v89, v89, v129                               // 000000009E4C: 0AB30359
	v_mul_f32_e32 v90, v90, v130                               // 000000009E50: 0AB5055A
	v_mul_f32_e32 v91, v91, v131                               // 000000009E54: 0AB7075B
	v_pk_mul_f32 v[4:5], v[92:93], v[92:93]                    // 000000009E58: D3B14004 1802B95C
	v_pk_mul_f32 v[6:7], v[94:95], v[94:95]                    // 000000009E60: D3B14006 1802BD5E
	v_pk_fma_f32 v[4:5], v[4:5], s[78:79], v[8:9]              // 000000009E68: D3B04004 1C209D04
	v_pk_fma_f32 v[6:7], v[6:7], s[78:79], v[8:9]              // 000000009E70: D3B04006 1C209D06
	v_pk_mul_f32 v[4:5], v[4:5], v[92:93]                      // 000000009E78: D3B14004 1802B904
	v_pk_mul_f32 v[6:7], v[6:7], v[94:95]                      // 000000009E80: D3B14006 1802BD06
	v_pk_mul_f32 v[4:5], v[4:5], s[60:61]                      // 000000009E88: D3B14004 18007904
	v_pk_mul_f32 v[6:7], v[6:7], s[60:61]                      // 000000009E90: D3B14006 18007906
	v_exp_f32_e32 v4, v4                                       // 000000009E98: 7E084104
	v_exp_f32_e32 v5, v5                                       // 000000009E9C: 7E0A4105
	v_exp_f32_e32 v6, v6                                       // 000000009EA0: 7E0C4106
	v_exp_f32_e32 v7, v7                                       // 000000009EA4: 7E0E4107
	v_add_f32_e64 v4, v4, 1.0                                  // 000000009EA8: D1010004 0001E504
	v_add_f32_e64 v5, v5, 1.0                                  // 000000009EB0: D1010005 0001E505
	v_add_f32_e64 v6, v6, 1.0                                  // 000000009EB8: D1010006 0001E506
	v_add_f32_e64 v7, v7, 1.0                                  // 000000009EC0: D1010007 0001E507
	v_rcp_f32_e32 v4, v4                                       // 000000009EC8: 7E084504
	v_rcp_f32_e32 v5, v5                                       // 000000009ECC: 7E0A4505
	v_rcp_f32_e32 v6, v6                                       // 000000009ED0: 7E0C4506
	v_rcp_f32_e32 v7, v7                                       // 000000009ED4: 7E0E4507
	v_mul_f32_e32 v92, v92, v4                                 // 000000009ED8: 0AB8095C
	v_mul_f32_e32 v93, v93, v5                                 // 000000009EDC: 0ABA0B5D
	v_mul_f32_e32 v94, v94, v6                                 // 000000009EE0: 0ABC0D5E
	v_mul_f32_e32 v95, v95, v7                                 // 000000009EE4: 0ABE0F5F
	v_mul_f32_e32 v92, v92, v132                               // 000000009EE8: 0AB9095C
	v_mul_f32_e32 v93, v93, v133                               // 000000009EEC: 0ABB0B5D
	v_mul_f32_e32 v94, v94, v134                               // 000000009EF0: 0ABD0D5E
	v_mul_f32_e32 v95, v95, v135                               // 000000009EF4: 0ABF0F5F
	v_pk_mul_f32 v[4:5], v[96:97], v[96:97]                    // 000000009EF8: D3B14004 1802C160
	v_pk_mul_f32 v[6:7], v[98:99], v[98:99]                    // 000000009F00: D3B14006 1802C562
	v_pk_fma_f32 v[4:5], v[4:5], s[78:79], v[8:9]              // 000000009F08: D3B04004 1C209D04
	v_pk_fma_f32 v[6:7], v[6:7], s[78:79], v[8:9]              // 000000009F10: D3B04006 1C209D06
	v_pk_mul_f32 v[4:5], v[4:5], v[96:97]                      // 000000009F18: D3B14004 1802C104
	v_pk_mul_f32 v[6:7], v[6:7], v[98:99]                      // 000000009F20: D3B14006 1802C506
	v_pk_mul_f32 v[4:5], v[4:5], s[60:61]                      // 000000009F28: D3B14004 18007904
	v_pk_mul_f32 v[6:7], v[6:7], s[60:61]                      // 000000009F30: D3B14006 18007906
	v_exp_f32_e32 v4, v4                                       // 000000009F38: 7E084104
	v_exp_f32_e32 v5, v5                                       // 000000009F3C: 7E0A4105
	v_exp_f32_e32 v6, v6                                       // 000000009F40: 7E0C4106
	v_exp_f32_e32 v7, v7                                       // 000000009F44: 7E0E4107
	v_add_f32_e64 v4, v4, 1.0                                  // 000000009F48: D1010004 0001E504
	v_add_f32_e64 v5, v5, 1.0                                  // 000000009F50: D1010005 0001E505
	v_add_f32_e64 v6, v6, 1.0                                  // 000000009F58: D1010006 0001E506
	v_add_f32_e64 v7, v7, 1.0                                  // 000000009F60: D1010007 0001E507
	v_rcp_f32_e32 v4, v4                                       // 000000009F68: 7E084504
	v_rcp_f32_e32 v5, v5                                       // 000000009F6C: 7E0A4505
	v_rcp_f32_e32 v6, v6                                       // 000000009F70: 7E0C4506
	v_rcp_f32_e32 v7, v7                                       // 000000009F74: 7E0E4507
	v_mul_f32_e32 v96, v96, v4                                 // 000000009F78: 0AC00960
	v_mul_f32_e32 v97, v97, v5                                 // 000000009F7C: 0AC20B61
	v_mul_f32_e32 v98, v98, v6                                 // 000000009F80: 0AC40D62
	v_mul_f32_e32 v99, v99, v7                                 // 000000009F84: 0AC60F63
	v_mul_f32_e32 v96, v96, v136                               // 000000009F88: 0AC11160
	v_mul_f32_e32 v97, v97, v137                               // 000000009F8C: 0AC31361
	v_mul_f32_e32 v98, v98, v138                               // 000000009F90: 0AC51562
	v_mul_f32_e32 v99, v99, v139                               // 000000009F94: 0AC71763
	v_pk_mul_f32 v[4:5], v[100:101], v[100:101]                // 000000009F98: D3B14004 1802C964
	v_pk_mul_f32 v[6:7], v[102:103], v[102:103]                // 000000009FA0: D3B14006 1802CD66
	v_pk_fma_f32 v[4:5], v[4:5], s[78:79], v[8:9]              // 000000009FA8: D3B04004 1C209D04
	v_pk_fma_f32 v[6:7], v[6:7], s[78:79], v[8:9]              // 000000009FB0: D3B04006 1C209D06
	v_pk_mul_f32 v[4:5], v[4:5], v[100:101]                    // 000000009FB8: D3B14004 1802C904
	v_pk_mul_f32 v[6:7], v[6:7], v[102:103]                    // 000000009FC0: D3B14006 1802CD06
	v_pk_mul_f32 v[4:5], v[4:5], s[60:61]                      // 000000009FC8: D3B14004 18007904
	v_pk_mul_f32 v[6:7], v[6:7], s[60:61]                      // 000000009FD0: D3B14006 18007906
	v_exp_f32_e32 v4, v4                                       // 000000009FD8: 7E084104
	v_exp_f32_e32 v5, v5                                       // 000000009FDC: 7E0A4105
	v_exp_f32_e32 v6, v6                                       // 000000009FE0: 7E0C4106
	v_exp_f32_e32 v7, v7                                       // 000000009FE4: 7E0E4107
	v_add_f32_e64 v4, v4, 1.0                                  // 000000009FE8: D1010004 0001E504
	v_add_f32_e64 v5, v5, 1.0                                  // 000000009FF0: D1010005 0001E505
	v_add_f32_e64 v6, v6, 1.0                                  // 000000009FF8: D1010006 0001E506
	v_add_f32_e64 v7, v7, 1.0                                  // 00000000A000: D1010007 0001E507
	v_rcp_f32_e32 v4, v4                                       // 00000000A008: 7E084504
	v_rcp_f32_e32 v5, v5                                       // 00000000A00C: 7E0A4505
	v_rcp_f32_e32 v6, v6                                       // 00000000A010: 7E0C4506
	v_rcp_f32_e32 v7, v7                                       // 00000000A014: 7E0E4507
	v_mul_f32_e32 v100, v100, v4                               // 00000000A018: 0AC80964
	v_mul_f32_e32 v101, v101, v5                               // 00000000A01C: 0ACA0B65
	v_mul_f32_e32 v102, v102, v6                               // 00000000A020: 0ACC0D66
	v_mul_f32_e32 v103, v103, v7                               // 00000000A024: 0ACE0F67
	v_mul_f32_e32 v100, v100, v140                             // 00000000A028: 0AC91964
	v_mul_f32_e32 v101, v101, v141                             // 00000000A02C: 0ACB1B65
	v_mul_f32_e32 v102, v102, v142                             // 00000000A030: 0ACD1D66
	v_mul_f32_e32 v103, v103, v143                             // 00000000A034: 0ACF1F67
	s_branch label_1ED2                                        // 00000000A038: BF820140

000000000000a03c <label_1D92>:
	v_mul_f32_e64 v4, -v64, s6                                 // 00000000A03C: D1050004 20000D40
	v_mul_f32_e64 v5, -v65, s6                                 // 00000000A044: D1050005 20000D41
	v_mul_f32_e64 v6, -v66, s6                                 // 00000000A04C: D1050006 20000D42
	v_mul_f32_e64 v7, -v67, s6                                 // 00000000A054: D1050007 20000D43
	v_exp_f32_e32 v4, v4                                       // 00000000A05C: 7E084104
	v_exp_f32_e32 v5, v5                                       // 00000000A060: 7E0A4105
	v_exp_f32_e32 v6, v6                                       // 00000000A064: 7E0C4106
	v_exp_f32_e32 v7, v7                                       // 00000000A068: 7E0E4107
	v_add_f32_e64 v4, v4, 1.0                                  // 00000000A06C: D1010004 0001E504
	v_add_f32_e64 v5, v5, 1.0                                  // 00000000A074: D1010005 0001E505
	v_add_f32_e64 v6, v6, 1.0                                  // 00000000A07C: D1010006 0001E506
	v_add_f32_e64 v7, v7, 1.0                                  // 00000000A084: D1010007 0001E507
	v_rcp_f32_e32 v4, v4                                       // 00000000A08C: 7E084504
	v_rcp_f32_e32 v5, v5                                       // 00000000A090: 7E0A4505
	v_rcp_f32_e32 v6, v6                                       // 00000000A094: 7E0C4506
	v_rcp_f32_e32 v7, v7                                       // 00000000A098: 7E0E4507
	v_mul_f32_e32 v64, v64, v4                                 // 00000000A09C: 0A800940
	v_mul_f32_e32 v65, v65, v5                                 // 00000000A0A0: 0A820B41
	v_mul_f32_e32 v66, v66, v6                                 // 00000000A0A4: 0A840D42
	v_mul_f32_e32 v67, v67, v7                                 // 00000000A0A8: 0A860F43
	v_mul_f32_e32 v64, v64, v104                               // 00000000A0AC: 0A80D140
	v_mul_f32_e32 v65, v65, v105                               // 00000000A0B0: 0A82D341
	v_mul_f32_e32 v66, v66, v106                               // 00000000A0B4: 0A84D542
	v_mul_f32_e32 v67, v67, v107                               // 00000000A0B8: 0A86D743
	v_mul_f32_e64 v4, -v68, s6                                 // 00000000A0BC: D1050004 20000D44
	v_mul_f32_e64 v5, -v69, s6                                 // 00000000A0C4: D1050005 20000D45
	v_mul_f32_e64 v6, -v70, s6                                 // 00000000A0CC: D1050006 20000D46
	v_mul_f32_e64 v7, -v71, s6                                 // 00000000A0D4: D1050007 20000D47
	v_exp_f32_e32 v4, v4                                       // 00000000A0DC: 7E084104
	v_exp_f32_e32 v5, v5                                       // 00000000A0E0: 7E0A4105
	v_exp_f32_e32 v6, v6                                       // 00000000A0E4: 7E0C4106
	v_exp_f32_e32 v7, v7                                       // 00000000A0E8: 7E0E4107
	v_add_f32_e64 v4, v4, 1.0                                  // 00000000A0EC: D1010004 0001E504
	v_add_f32_e64 v5, v5, 1.0                                  // 00000000A0F4: D1010005 0001E505
	v_add_f32_e64 v6, v6, 1.0                                  // 00000000A0FC: D1010006 0001E506
	v_add_f32_e64 v7, v7, 1.0                                  // 00000000A104: D1010007 0001E507
	v_rcp_f32_e32 v4, v4                                       // 00000000A10C: 7E084504
	v_rcp_f32_e32 v5, v5                                       // 00000000A110: 7E0A4505
	v_rcp_f32_e32 v6, v6                                       // 00000000A114: 7E0C4506
	v_rcp_f32_e32 v7, v7                                       // 00000000A118: 7E0E4507
	v_mul_f32_e32 v68, v68, v4                                 // 00000000A11C: 0A880944
	v_mul_f32_e32 v69, v69, v5                                 // 00000000A120: 0A8A0B45
	v_mul_f32_e32 v70, v70, v6                                 // 00000000A124: 0A8C0D46
	v_mul_f32_e32 v71, v71, v7                                 // 00000000A128: 0A8E0F47
	v_mul_f32_e32 v68, v68, v108                               // 00000000A12C: 0A88D944
	v_mul_f32_e32 v69, v69, v109                               // 00000000A130: 0A8ADB45
	v_mul_f32_e32 v70, v70, v110                               // 00000000A134: 0A8CDD46
	v_mul_f32_e32 v71, v71, v111                               // 00000000A138: 0A8EDF47
	v_mul_f32_e64 v4, -v72, s6                                 // 00000000A13C: D1050004 20000D48
	v_mul_f32_e64 v5, -v73, s6                                 // 00000000A144: D1050005 20000D49
	v_mul_f32_e64 v6, -v74, s6                                 // 00000000A14C: D1050006 20000D4A
	v_mul_f32_e64 v7, -v75, s6                                 // 00000000A154: D1050007 20000D4B
	v_exp_f32_e32 v4, v4                                       // 00000000A15C: 7E084104
	v_exp_f32_e32 v5, v5                                       // 00000000A160: 7E0A4105
	v_exp_f32_e32 v6, v6                                       // 00000000A164: 7E0C4106
	v_exp_f32_e32 v7, v7                                       // 00000000A168: 7E0E4107
	v_add_f32_e64 v4, v4, 1.0                                  // 00000000A16C: D1010004 0001E504
	v_add_f32_e64 v5, v5, 1.0                                  // 00000000A174: D1010005 0001E505
	v_add_f32_e64 v6, v6, 1.0                                  // 00000000A17C: D1010006 0001E506
	v_add_f32_e64 v7, v7, 1.0                                  // 00000000A184: D1010007 0001E507
	v_rcp_f32_e32 v4, v4                                       // 00000000A18C: 7E084504
	v_rcp_f32_e32 v5, v5                                       // 00000000A190: 7E0A4505
	v_rcp_f32_e32 v6, v6                                       // 00000000A194: 7E0C4506
	v_rcp_f32_e32 v7, v7                                       // 00000000A198: 7E0E4507
	v_mul_f32_e32 v72, v72, v4                                 // 00000000A19C: 0A900948
	v_mul_f32_e32 v73, v73, v5                                 // 00000000A1A0: 0A920B49
	v_mul_f32_e32 v74, v74, v6                                 // 00000000A1A4: 0A940D4A
	v_mul_f32_e32 v75, v75, v7                                 // 00000000A1A8: 0A960F4B
	v_mul_f32_e32 v72, v72, v112                               // 00000000A1AC: 0A90E148
	v_mul_f32_e32 v73, v73, v113                               // 00000000A1B0: 0A92E349
	v_mul_f32_e32 v74, v74, v114                               // 00000000A1B4: 0A94E54A
	v_mul_f32_e32 v75, v75, v115                               // 00000000A1B8: 0A96E74B
	v_mul_f32_e64 v4, -v76, s6                                 // 00000000A1BC: D1050004 20000D4C
	v_mul_f32_e64 v5, -v77, s6                                 // 00000000A1C4: D1050005 20000D4D
	v_mul_f32_e64 v6, -v78, s6                                 // 00000000A1CC: D1050006 20000D4E
	v_mul_f32_e64 v7, -v79, s6                                 // 00000000A1D4: D1050007 20000D4F
	v_exp_f32_e32 v4, v4                                       // 00000000A1DC: 7E084104
	v_exp_f32_e32 v5, v5                                       // 00000000A1E0: 7E0A4105
	v_exp_f32_e32 v6, v6                                       // 00000000A1E4: 7E0C4106
	v_exp_f32_e32 v7, v7                                       // 00000000A1E8: 7E0E4107
	v_add_f32_e64 v4, v4, 1.0                                  // 00000000A1EC: D1010004 0001E504
	v_add_f32_e64 v5, v5, 1.0                                  // 00000000A1F4: D1010005 0001E505
	v_add_f32_e64 v6, v6, 1.0                                  // 00000000A1FC: D1010006 0001E506
	v_add_f32_e64 v7, v7, 1.0                                  // 00000000A204: D1010007 0001E507
	v_rcp_f32_e32 v4, v4                                       // 00000000A20C: 7E084504
	v_rcp_f32_e32 v5, v5                                       // 00000000A210: 7E0A4505
	v_rcp_f32_e32 v6, v6                                       // 00000000A214: 7E0C4506
	v_rcp_f32_e32 v7, v7                                       // 00000000A218: 7E0E4507
	v_mul_f32_e32 v76, v76, v4                                 // 00000000A21C: 0A98094C
	v_mul_f32_e32 v77, v77, v5                                 // 00000000A220: 0A9A0B4D
	v_mul_f32_e32 v78, v78, v6                                 // 00000000A224: 0A9C0D4E
	v_mul_f32_e32 v79, v79, v7                                 // 00000000A228: 0A9E0F4F
	v_mul_f32_e32 v76, v76, v116                               // 00000000A22C: 0A98E94C
	v_mul_f32_e32 v77, v77, v117                               // 00000000A230: 0A9AEB4D
	v_mul_f32_e32 v78, v78, v118                               // 00000000A234: 0A9CED4E
	v_mul_f32_e32 v79, v79, v119                               // 00000000A238: 0A9EEF4F
	v_mul_f32_e64 v4, -v80, s6                                 // 00000000A23C: D1050004 20000D50
	v_mul_f32_e64 v5, -v81, s6                                 // 00000000A244: D1050005 20000D51
	v_mul_f32_e64 v6, -v82, s6                                 // 00000000A24C: D1050006 20000D52
	v_mul_f32_e64 v7, -v83, s6                                 // 00000000A254: D1050007 20000D53
	v_exp_f32_e32 v4, v4                                       // 00000000A25C: 7E084104
	v_exp_f32_e32 v5, v5                                       // 00000000A260: 7E0A4105
	v_exp_f32_e32 v6, v6                                       // 00000000A264: 7E0C4106
	v_exp_f32_e32 v7, v7                                       // 00000000A268: 7E0E4107
	v_add_f32_e64 v4, v4, 1.0                                  // 00000000A26C: D1010004 0001E504
	v_add_f32_e64 v5, v5, 1.0                                  // 00000000A274: D1010005 0001E505
	v_add_f32_e64 v6, v6, 1.0                                  // 00000000A27C: D1010006 0001E506
	v_add_f32_e64 v7, v7, 1.0                                  // 00000000A284: D1010007 0001E507
	v_rcp_f32_e32 v4, v4                                       // 00000000A28C: 7E084504
	v_rcp_f32_e32 v5, v5                                       // 00000000A290: 7E0A4505
	v_rcp_f32_e32 v6, v6                                       // 00000000A294: 7E0C4506
	v_rcp_f32_e32 v7, v7                                       // 00000000A298: 7E0E4507
	v_mul_f32_e32 v80, v80, v4                                 // 00000000A29C: 0AA00950
	v_mul_f32_e32 v81, v81, v5                                 // 00000000A2A0: 0AA20B51
	v_mul_f32_e32 v82, v82, v6                                 // 00000000A2A4: 0AA40D52
	v_mul_f32_e32 v83, v83, v7                                 // 00000000A2A8: 0AA60F53
	v_mul_f32_e32 v80, v80, v120                               // 00000000A2AC: 0AA0F150
	v_mul_f32_e32 v81, v81, v121                               // 00000000A2B0: 0AA2F351
	v_mul_f32_e32 v82, v82, v122                               // 00000000A2B4: 0AA4F552
	v_mul_f32_e32 v83, v83, v123                               // 00000000A2B8: 0AA6F753
	v_mul_f32_e64 v4, -v84, s6                                 // 00000000A2BC: D1050004 20000D54
	v_mul_f32_e64 v5, -v85, s6                                 // 00000000A2C4: D1050005 20000D55
	v_mul_f32_e64 v6, -v86, s6                                 // 00000000A2CC: D1050006 20000D56
	v_mul_f32_e64 v7, -v87, s6                                 // 00000000A2D4: D1050007 20000D57
	v_exp_f32_e32 v4, v4                                       // 00000000A2DC: 7E084104
	v_exp_f32_e32 v5, v5                                       // 00000000A2E0: 7E0A4105
	v_exp_f32_e32 v6, v6                                       // 00000000A2E4: 7E0C4106
	v_exp_f32_e32 v7, v7                                       // 00000000A2E8: 7E0E4107
	v_add_f32_e64 v4, v4, 1.0                                  // 00000000A2EC: D1010004 0001E504
	v_add_f32_e64 v5, v5, 1.0                                  // 00000000A2F4: D1010005 0001E505
	v_add_f32_e64 v6, v6, 1.0                                  // 00000000A2FC: D1010006 0001E506
	v_add_f32_e64 v7, v7, 1.0                                  // 00000000A304: D1010007 0001E507
	v_rcp_f32_e32 v4, v4                                       // 00000000A30C: 7E084504
	v_rcp_f32_e32 v5, v5                                       // 00000000A310: 7E0A4505
	v_rcp_f32_e32 v6, v6                                       // 00000000A314: 7E0C4506
	v_rcp_f32_e32 v7, v7                                       // 00000000A318: 7E0E4507
	v_mul_f32_e32 v84, v84, v4                                 // 00000000A31C: 0AA80954
	v_mul_f32_e32 v85, v85, v5                                 // 00000000A320: 0AAA0B55
	v_mul_f32_e32 v86, v86, v6                                 // 00000000A324: 0AAC0D56
	v_mul_f32_e32 v87, v87, v7                                 // 00000000A328: 0AAE0F57
	v_mul_f32_e32 v84, v84, v124                               // 00000000A32C: 0AA8F954
	v_mul_f32_e32 v85, v85, v125                               // 00000000A330: 0AAAFB55
	v_mul_f32_e32 v86, v86, v126                               // 00000000A334: 0AACFD56
	v_mul_f32_e32 v87, v87, v127                               // 00000000A338: 0AAEFF57
	v_mul_f32_e64 v4, -v88, s6                                 // 00000000A33C: D1050004 20000D58
	v_mul_f32_e64 v5, -v89, s6                                 // 00000000A344: D1050005 20000D59
	v_mul_f32_e64 v6, -v90, s6                                 // 00000000A34C: D1050006 20000D5A
	v_mul_f32_e64 v7, -v91, s6                                 // 00000000A354: D1050007 20000D5B
	v_exp_f32_e32 v4, v4                                       // 00000000A35C: 7E084104
	v_exp_f32_e32 v5, v5                                       // 00000000A360: 7E0A4105
	v_exp_f32_e32 v6, v6                                       // 00000000A364: 7E0C4106
	v_exp_f32_e32 v7, v7                                       // 00000000A368: 7E0E4107
	v_add_f32_e64 v4, v4, 1.0                                  // 00000000A36C: D1010004 0001E504
	v_add_f32_e64 v5, v5, 1.0                                  // 00000000A374: D1010005 0001E505
	v_add_f32_e64 v6, v6, 1.0                                  // 00000000A37C: D1010006 0001E506
	v_add_f32_e64 v7, v7, 1.0                                  // 00000000A384: D1010007 0001E507
	v_rcp_f32_e32 v4, v4                                       // 00000000A38C: 7E084504
	v_rcp_f32_e32 v5, v5                                       // 00000000A390: 7E0A4505
	v_rcp_f32_e32 v6, v6                                       // 00000000A394: 7E0C4506
	v_rcp_f32_e32 v7, v7                                       // 00000000A398: 7E0E4507
	v_mul_f32_e32 v88, v88, v4                                 // 00000000A39C: 0AB00958
	v_mul_f32_e32 v89, v89, v5                                 // 00000000A3A0: 0AB20B59
	v_mul_f32_e32 v90, v90, v6                                 // 00000000A3A4: 0AB40D5A
	v_mul_f32_e32 v91, v91, v7                                 // 00000000A3A8: 0AB60F5B
	v_mul_f32_e32 v88, v88, v128                               // 00000000A3AC: 0AB10158
	v_mul_f32_e32 v89, v89, v129                               // 00000000A3B0: 0AB30359
	v_mul_f32_e32 v90, v90, v130                               // 00000000A3B4: 0AB5055A
	v_mul_f32_e32 v91, v91, v131                               // 00000000A3B8: 0AB7075B
	v_mul_f32_e64 v4, -v92, s6                                 // 00000000A3BC: D1050004 20000D5C
	v_mul_f32_e64 v5, -v93, s6                                 // 00000000A3C4: D1050005 20000D5D
	v_mul_f32_e64 v6, -v94, s6                                 // 00000000A3CC: D1050006 20000D5E
	v_mul_f32_e64 v7, -v95, s6                                 // 00000000A3D4: D1050007 20000D5F
	v_exp_f32_e32 v4, v4                                       // 00000000A3DC: 7E084104
	v_exp_f32_e32 v5, v5                                       // 00000000A3E0: 7E0A4105
	v_exp_f32_e32 v6, v6                                       // 00000000A3E4: 7E0C4106
	v_exp_f32_e32 v7, v7                                       // 00000000A3E8: 7E0E4107
	v_add_f32_e64 v4, v4, 1.0                                  // 00000000A3EC: D1010004 0001E504
	v_add_f32_e64 v5, v5, 1.0                                  // 00000000A3F4: D1010005 0001E505
	v_add_f32_e64 v6, v6, 1.0                                  // 00000000A3FC: D1010006 0001E506
	v_add_f32_e64 v7, v7, 1.0                                  // 00000000A404: D1010007 0001E507
	v_rcp_f32_e32 v4, v4                                       // 00000000A40C: 7E084504
	v_rcp_f32_e32 v5, v5                                       // 00000000A410: 7E0A4505
	v_rcp_f32_e32 v6, v6                                       // 00000000A414: 7E0C4506
	v_rcp_f32_e32 v7, v7                                       // 00000000A418: 7E0E4507
	v_mul_f32_e32 v92, v92, v4                                 // 00000000A41C: 0AB8095C
	v_mul_f32_e32 v93, v93, v5                                 // 00000000A420: 0ABA0B5D
	v_mul_f32_e32 v94, v94, v6                                 // 00000000A424: 0ABC0D5E
	v_mul_f32_e32 v95, v95, v7                                 // 00000000A428: 0ABE0F5F
	v_mul_f32_e32 v92, v92, v132                               // 00000000A42C: 0AB9095C
	v_mul_f32_e32 v93, v93, v133                               // 00000000A430: 0ABB0B5D
	v_mul_f32_e32 v94, v94, v134                               // 00000000A434: 0ABD0D5E
	v_mul_f32_e32 v95, v95, v135                               // 00000000A438: 0ABF0F5F
	v_mul_f32_e64 v4, -v96, s6                                 // 00000000A43C: D1050004 20000D60
	v_mul_f32_e64 v5, -v97, s6                                 // 00000000A444: D1050005 20000D61
	v_mul_f32_e64 v6, -v98, s6                                 // 00000000A44C: D1050006 20000D62
	v_mul_f32_e64 v7, -v99, s6                                 // 00000000A454: D1050007 20000D63
	v_exp_f32_e32 v4, v4                                       // 00000000A45C: 7E084104
	v_exp_f32_e32 v5, v5                                       // 00000000A460: 7E0A4105
	v_exp_f32_e32 v6, v6                                       // 00000000A464: 7E0C4106
	v_exp_f32_e32 v7, v7                                       // 00000000A468: 7E0E4107
	v_add_f32_e64 v4, v4, 1.0                                  // 00000000A46C: D1010004 0001E504
	v_add_f32_e64 v5, v5, 1.0                                  // 00000000A474: D1010005 0001E505
	v_add_f32_e64 v6, v6, 1.0                                  // 00000000A47C: D1010006 0001E506
	v_add_f32_e64 v7, v7, 1.0                                  // 00000000A484: D1010007 0001E507
	v_rcp_f32_e32 v4, v4                                       // 00000000A48C: 7E084504
	v_rcp_f32_e32 v5, v5                                       // 00000000A490: 7E0A4505
	v_rcp_f32_e32 v6, v6                                       // 00000000A494: 7E0C4506
	v_rcp_f32_e32 v7, v7                                       // 00000000A498: 7E0E4507
	v_mul_f32_e32 v96, v96, v4                                 // 00000000A49C: 0AC00960
	v_mul_f32_e32 v97, v97, v5                                 // 00000000A4A0: 0AC20B61
	v_mul_f32_e32 v98, v98, v6                                 // 00000000A4A4: 0AC40D62
	v_mul_f32_e32 v99, v99, v7                                 // 00000000A4A8: 0AC60F63
	v_mul_f32_e32 v96, v96, v136                               // 00000000A4AC: 0AC11160
	v_mul_f32_e32 v97, v97, v137                               // 00000000A4B0: 0AC31361
	v_mul_f32_e32 v98, v98, v138                               // 00000000A4B4: 0AC51562
	v_mul_f32_e32 v99, v99, v139                               // 00000000A4B8: 0AC71763
	v_mul_f32_e64 v4, -v100, s6                                // 00000000A4BC: D1050004 20000D64
	v_mul_f32_e64 v5, -v101, s6                                // 00000000A4C4: D1050005 20000D65
	v_mul_f32_e64 v6, -v102, s6                                // 00000000A4CC: D1050006 20000D66
	v_mul_f32_e64 v7, -v103, s6                                // 00000000A4D4: D1050007 20000D67
	v_exp_f32_e32 v4, v4                                       // 00000000A4DC: 7E084104
	v_exp_f32_e32 v5, v5                                       // 00000000A4E0: 7E0A4105
	v_exp_f32_e32 v6, v6                                       // 00000000A4E4: 7E0C4106
	v_exp_f32_e32 v7, v7                                       // 00000000A4E8: 7E0E4107
	v_add_f32_e64 v4, v4, 1.0                                  // 00000000A4EC: D1010004 0001E504
	v_add_f32_e64 v5, v5, 1.0                                  // 00000000A4F4: D1010005 0001E505
	v_add_f32_e64 v6, v6, 1.0                                  // 00000000A4FC: D1010006 0001E506
	v_add_f32_e64 v7, v7, 1.0                                  // 00000000A504: D1010007 0001E507
	v_rcp_f32_e32 v4, v4                                       // 00000000A50C: 7E084504
	v_rcp_f32_e32 v5, v5                                       // 00000000A510: 7E0A4505
	v_rcp_f32_e32 v6, v6                                       // 00000000A514: 7E0C4506
	v_rcp_f32_e32 v7, v7                                       // 00000000A518: 7E0E4507
	v_mul_f32_e32 v100, v100, v4                               // 00000000A51C: 0AC80964
	v_mul_f32_e32 v101, v101, v5                               // 00000000A520: 0ACA0B65
	v_mul_f32_e32 v102, v102, v6                               // 00000000A524: 0ACC0D66
	v_mul_f32_e32 v103, v103, v7                               // 00000000A528: 0ACE0F67
	v_mul_f32_e32 v100, v100, v140                             // 00000000A52C: 0AC91964
	v_mul_f32_e32 v101, v101, v141                             // 00000000A530: 0ACB1B65
	v_mul_f32_e32 v102, v102, v142                             // 00000000A534: 0ACD1D66
	v_mul_f32_e32 v103, v103, v143                             // 00000000A538: 0ACF1F67

000000000000a53c <label_1ED2>:
	v_cmp_u_f32_e64 s[46:47], v64, v64                         // 00000000A53C: D048002E 00028140
	v_add3_u32 v16, v64, v19, 1                                // 00000000A544: D1FF0010 02062740
	v_cndmask_b32_e64 v4, v16, v18, s[46:47]                   // 00000000A54C: D1000004 00BA2510
	v_cmp_u_f32_e64 s[46:47], v65, v65                         // 00000000A554: D048002E 00028341
	v_add3_u32 v16, v65, v19, 1                                // 00000000A55C: D1FF0010 02062741
	v_cndmask_b32_e64 v5, v16, v18, s[46:47]                   // 00000000A564: D1000005 00BA2510
	v_perm_b32 v64, v5, v4, s52                                // 00000000A56C: D1ED0040 00D20905
	v_cmp_u_f32_e64 s[46:47], v66, v66                         // 00000000A574: D048002E 00028542
	v_add3_u32 v16, v66, v19, 1                                // 00000000A57C: D1FF0010 02062742
	v_cndmask_b32_e64 v4, v16, v18, s[46:47]                   // 00000000A584: D1000004 00BA2510
	v_cmp_u_f32_e64 s[46:47], v67, v67                         // 00000000A58C: D048002E 00028743
	v_add3_u32 v16, v67, v19, 1                                // 00000000A594: D1FF0010 02062743
	v_cndmask_b32_e64 v5, v16, v18, s[46:47]                   // 00000000A59C: D1000005 00BA2510
	v_perm_b32 v65, v5, v4, s52                                // 00000000A5A4: D1ED0041 00D20905
	v_cmp_u_f32_e64 s[46:47], v68, v68                         // 00000000A5AC: D048002E 00028944
	v_add3_u32 v16, v68, v19, 1                                // 00000000A5B4: D1FF0010 02062744
	v_cndmask_b32_e64 v4, v16, v18, s[46:47]                   // 00000000A5BC: D1000004 00BA2510
	v_cmp_u_f32_e64 s[46:47], v69, v69                         // 00000000A5C4: D048002E 00028B45
	v_add3_u32 v16, v69, v19, 1                                // 00000000A5CC: D1FF0010 02062745
	v_cndmask_b32_e64 v5, v16, v18, s[46:47]                   // 00000000A5D4: D1000005 00BA2510
	v_perm_b32 v66, v5, v4, s52                                // 00000000A5DC: D1ED0042 00D20905
	v_cmp_u_f32_e64 s[46:47], v70, v70                         // 00000000A5E4: D048002E 00028D46
	v_add3_u32 v16, v70, v19, 1                                // 00000000A5EC: D1FF0010 02062746
	v_cndmask_b32_e64 v4, v16, v18, s[46:47]                   // 00000000A5F4: D1000004 00BA2510
	v_cmp_u_f32_e64 s[46:47], v71, v71                         // 00000000A5FC: D048002E 00028F47
	v_add3_u32 v16, v71, v19, 1                                // 00000000A604: D1FF0010 02062747
	v_cndmask_b32_e64 v5, v16, v18, s[46:47]                   // 00000000A60C: D1000005 00BA2510
	v_perm_b32 v67, v5, v4, s52                                // 00000000A614: D1ED0043 00D20905
	v_cmp_u_f32_e64 s[46:47], v72, v72                         // 00000000A61C: D048002E 00029148
	v_add3_u32 v16, v72, v19, 1                                // 00000000A624: D1FF0010 02062748
	v_cndmask_b32_e64 v4, v16, v18, s[46:47]                   // 00000000A62C: D1000004 00BA2510
	v_cmp_u_f32_e64 s[46:47], v73, v73                         // 00000000A634: D048002E 00029349
	v_add3_u32 v16, v73, v19, 1                                // 00000000A63C: D1FF0010 02062749
	v_cndmask_b32_e64 v5, v16, v18, s[46:47]                   // 00000000A644: D1000005 00BA2510
	v_perm_b32 v68, v5, v4, s52                                // 00000000A64C: D1ED0044 00D20905
	v_cmp_u_f32_e64 s[46:47], v74, v74                         // 00000000A654: D048002E 0002954A
	v_add3_u32 v16, v74, v19, 1                                // 00000000A65C: D1FF0010 0206274A
	v_cndmask_b32_e64 v4, v16, v18, s[46:47]                   // 00000000A664: D1000004 00BA2510
	v_cmp_u_f32_e64 s[46:47], v75, v75                         // 00000000A66C: D048002E 0002974B
	v_add3_u32 v16, v75, v19, 1                                // 00000000A674: D1FF0010 0206274B
	v_cndmask_b32_e64 v5, v16, v18, s[46:47]                   // 00000000A67C: D1000005 00BA2510
	v_perm_b32 v69, v5, v4, s52                                // 00000000A684: D1ED0045 00D20905
	v_cmp_u_f32_e64 s[46:47], v76, v76                         // 00000000A68C: D048002E 0002994C
	v_add3_u32 v16, v76, v19, 1                                // 00000000A694: D1FF0010 0206274C
	v_cndmask_b32_e64 v4, v16, v18, s[46:47]                   // 00000000A69C: D1000004 00BA2510
	v_cmp_u_f32_e64 s[46:47], v77, v77                         // 00000000A6A4: D048002E 00029B4D
	v_add3_u32 v16, v77, v19, 1                                // 00000000A6AC: D1FF0010 0206274D
	v_cndmask_b32_e64 v5, v16, v18, s[46:47]                   // 00000000A6B4: D1000005 00BA2510
	v_perm_b32 v70, v5, v4, s52                                // 00000000A6BC: D1ED0046 00D20905
	v_cmp_u_f32_e64 s[46:47], v78, v78                         // 00000000A6C4: D048002E 00029D4E
	v_add3_u32 v16, v78, v19, 1                                // 00000000A6CC: D1FF0010 0206274E
	v_cndmask_b32_e64 v4, v16, v18, s[46:47]                   // 00000000A6D4: D1000004 00BA2510
	v_cmp_u_f32_e64 s[46:47], v79, v79                         // 00000000A6DC: D048002E 00029F4F
	v_add3_u32 v16, v79, v19, 1                                // 00000000A6E4: D1FF0010 0206274F
	v_cndmask_b32_e64 v5, v16, v18, s[46:47]                   // 00000000A6EC: D1000005 00BA2510
	v_perm_b32 v71, v5, v4, s52                                // 00000000A6F4: D1ED0047 00D20905
	v_cmp_u_f32_e64 s[46:47], v80, v80                         // 00000000A6FC: D048002E 0002A150
	v_add3_u32 v16, v80, v19, 1                                // 00000000A704: D1FF0010 02062750
	v_cndmask_b32_e64 v4, v16, v18, s[46:47]                   // 00000000A70C: D1000004 00BA2510
	v_cmp_u_f32_e64 s[46:47], v81, v81                         // 00000000A714: D048002E 0002A351
	v_add3_u32 v16, v81, v19, 1                                // 00000000A71C: D1FF0010 02062751
	v_cndmask_b32_e64 v5, v16, v18, s[46:47]                   // 00000000A724: D1000005 00BA2510
	v_perm_b32 v72, v5, v4, s52                                // 00000000A72C: D1ED0048 00D20905
	v_cmp_u_f32_e64 s[46:47], v82, v82                         // 00000000A734: D048002E 0002A552
	v_add3_u32 v16, v82, v19, 1                                // 00000000A73C: D1FF0010 02062752
	v_cndmask_b32_e64 v4, v16, v18, s[46:47]                   // 00000000A744: D1000004 00BA2510
	v_cmp_u_f32_e64 s[46:47], v83, v83                         // 00000000A74C: D048002E 0002A753
	v_add3_u32 v16, v83, v19, 1                                // 00000000A754: D1FF0010 02062753
	v_cndmask_b32_e64 v5, v16, v18, s[46:47]                   // 00000000A75C: D1000005 00BA2510
	v_perm_b32 v73, v5, v4, s52                                // 00000000A764: D1ED0049 00D20905
	v_cmp_u_f32_e64 s[46:47], v84, v84                         // 00000000A76C: D048002E 0002A954
	v_add3_u32 v16, v84, v19, 1                                // 00000000A774: D1FF0010 02062754
	v_cndmask_b32_e64 v4, v16, v18, s[46:47]                   // 00000000A77C: D1000004 00BA2510
	v_cmp_u_f32_e64 s[46:47], v85, v85                         // 00000000A784: D048002E 0002AB55
	v_add3_u32 v16, v85, v19, 1                                // 00000000A78C: D1FF0010 02062755
	v_cndmask_b32_e64 v5, v16, v18, s[46:47]                   // 00000000A794: D1000005 00BA2510
	v_perm_b32 v74, v5, v4, s52                                // 00000000A79C: D1ED004A 00D20905
	v_cmp_u_f32_e64 s[46:47], v86, v86                         // 00000000A7A4: D048002E 0002AD56
	v_add3_u32 v16, v86, v19, 1                                // 00000000A7AC: D1FF0010 02062756
	v_cndmask_b32_e64 v4, v16, v18, s[46:47]                   // 00000000A7B4: D1000004 00BA2510
	v_cmp_u_f32_e64 s[46:47], v87, v87                         // 00000000A7BC: D048002E 0002AF57
	v_add3_u32 v16, v87, v19, 1                                // 00000000A7C4: D1FF0010 02062757
	v_cndmask_b32_e64 v5, v16, v18, s[46:47]                   // 00000000A7CC: D1000005 00BA2510
	v_perm_b32 v75, v5, v4, s52                                // 00000000A7D4: D1ED004B 00D20905
	v_cmp_u_f32_e64 s[46:47], v88, v88                         // 00000000A7DC: D048002E 0002B158
	v_add3_u32 v16, v88, v19, 1                                // 00000000A7E4: D1FF0010 02062758
	v_cndmask_b32_e64 v4, v16, v18, s[46:47]                   // 00000000A7EC: D1000004 00BA2510
	v_cmp_u_f32_e64 s[46:47], v89, v89                         // 00000000A7F4: D048002E 0002B359
	v_add3_u32 v16, v89, v19, 1                                // 00000000A7FC: D1FF0010 02062759
	v_cndmask_b32_e64 v5, v16, v18, s[46:47]                   // 00000000A804: D1000005 00BA2510
	v_perm_b32 v76, v5, v4, s52                                // 00000000A80C: D1ED004C 00D20905
	v_cmp_u_f32_e64 s[46:47], v90, v90                         // 00000000A814: D048002E 0002B55A
	v_add3_u32 v16, v90, v19, 1                                // 00000000A81C: D1FF0010 0206275A
	v_cndmask_b32_e64 v4, v16, v18, s[46:47]                   // 00000000A824: D1000004 00BA2510
	v_cmp_u_f32_e64 s[46:47], v91, v91                         // 00000000A82C: D048002E 0002B75B
	v_add3_u32 v16, v91, v19, 1                                // 00000000A834: D1FF0010 0206275B
	v_cndmask_b32_e64 v5, v16, v18, s[46:47]                   // 00000000A83C: D1000005 00BA2510
	v_perm_b32 v77, v5, v4, s52                                // 00000000A844: D1ED004D 00D20905
	v_cmp_u_f32_e64 s[46:47], v92, v92                         // 00000000A84C: D048002E 0002B95C
	v_add3_u32 v16, v92, v19, 1                                // 00000000A854: D1FF0010 0206275C
	v_cndmask_b32_e64 v4, v16, v18, s[46:47]                   // 00000000A85C: D1000004 00BA2510
	v_cmp_u_f32_e64 s[46:47], v93, v93                         // 00000000A864: D048002E 0002BB5D
	v_add3_u32 v16, v93, v19, 1                                // 00000000A86C: D1FF0010 0206275D
	v_cndmask_b32_e64 v5, v16, v18, s[46:47]                   // 00000000A874: D1000005 00BA2510
	v_perm_b32 v78, v5, v4, s52                                // 00000000A87C: D1ED004E 00D20905
	v_cmp_u_f32_e64 s[46:47], v94, v94                         // 00000000A884: D048002E 0002BD5E
	v_add3_u32 v16, v94, v19, 1                                // 00000000A88C: D1FF0010 0206275E
	v_cndmask_b32_e64 v4, v16, v18, s[46:47]                   // 00000000A894: D1000004 00BA2510
	v_cmp_u_f32_e64 s[46:47], v95, v95                         // 00000000A89C: D048002E 0002BF5F
	v_add3_u32 v16, v95, v19, 1                                // 00000000A8A4: D1FF0010 0206275F
	v_cndmask_b32_e64 v5, v16, v18, s[46:47]                   // 00000000A8AC: D1000005 00BA2510
	v_perm_b32 v79, v5, v4, s52                                // 00000000A8B4: D1ED004F 00D20905
	v_cmp_u_f32_e64 s[46:47], v96, v96                         // 00000000A8BC: D048002E 0002C160
	v_add3_u32 v16, v96, v19, 1                                // 00000000A8C4: D1FF0010 02062760
	v_cndmask_b32_e64 v4, v16, v18, s[46:47]                   // 00000000A8CC: D1000004 00BA2510
	v_cmp_u_f32_e64 s[46:47], v97, v97                         // 00000000A8D4: D048002E 0002C361
	v_add3_u32 v16, v97, v19, 1                                // 00000000A8DC: D1FF0010 02062761
	v_cndmask_b32_e64 v5, v16, v18, s[46:47]                   // 00000000A8E4: D1000005 00BA2510
	v_perm_b32 v80, v5, v4, s52                                // 00000000A8EC: D1ED0050 00D20905
	v_cmp_u_f32_e64 s[46:47], v98, v98                         // 00000000A8F4: D048002E 0002C562
	v_add3_u32 v16, v98, v19, 1                                // 00000000A8FC: D1FF0010 02062762
	v_cndmask_b32_e64 v4, v16, v18, s[46:47]                   // 00000000A904: D1000004 00BA2510
	v_cmp_u_f32_e64 s[46:47], v99, v99                         // 00000000A90C: D048002E 0002C763
	v_add3_u32 v16, v99, v19, 1                                // 00000000A914: D1FF0010 02062763
	v_cndmask_b32_e64 v5, v16, v18, s[46:47]                   // 00000000A91C: D1000005 00BA2510
	v_perm_b32 v81, v5, v4, s52                                // 00000000A924: D1ED0051 00D20905
	v_cmp_u_f32_e64 s[46:47], v100, v100                       // 00000000A92C: D048002E 0002C964
	v_add3_u32 v16, v100, v19, 1                               // 00000000A934: D1FF0010 02062764
	v_cndmask_b32_e64 v4, v16, v18, s[46:47]                   // 00000000A93C: D1000004 00BA2510
	v_cmp_u_f32_e64 s[46:47], v101, v101                       // 00000000A944: D048002E 0002CB65
	v_add3_u32 v16, v101, v19, 1                               // 00000000A94C: D1FF0010 02062765
	v_cndmask_b32_e64 v5, v16, v18, s[46:47]                   // 00000000A954: D1000005 00BA2510
	v_perm_b32 v82, v5, v4, s52                                // 00000000A95C: D1ED0052 00D20905
	v_cmp_u_f32_e64 s[46:47], v102, v102                       // 00000000A964: D048002E 0002CD66
	v_add3_u32 v16, v102, v19, 1                               // 00000000A96C: D1FF0010 02062766
	v_cndmask_b32_e64 v4, v16, v18, s[46:47]                   // 00000000A974: D1000004 00BA2510
	v_cmp_u_f32_e64 s[46:47], v103, v103                       // 00000000A97C: D048002E 0002CF67
	v_add3_u32 v16, v103, v19, 1                               // 00000000A984: D1FF0010 02062767
	v_cndmask_b32_e64 v5, v16, v18, s[46:47]                   // 00000000A98C: D1000005 00BA2510
	v_perm_b32 v83, v5, v4, s52                                // 00000000A994: D1ED0053 00D20905
	ds_write_b64 v20, v[64:65]                                 // 00000000A99C: D89A0000 00004014
	ds_write_b64 v20, v[66:67] offset:4352                     // 00000000A9A4: D89A1100 00004214
	ds_write_b64 v20, v[68:69] offset:8704                     // 00000000A9AC: D89A2200 00004414
	ds_write_b64 v20, v[70:71] offset:13056                    // 00000000A9B4: D89A3300 00004614
	ds_write_b64 v20, v[72:73] offset:17408                    // 00000000A9BC: D89A4400 00004814
	ds_write_b64 v20, v[74:75] offset:2176                     // 00000000A9C4: D89A0880 00004A14
	ds_write_b64 v20, v[76:77] offset:6528                     // 00000000A9CC: D89A1980 00004C14
	ds_write_b64 v20, v[78:79] offset:10880                    // 00000000A9D4: D89A2A80 00004E14
	ds_write_b64 v20, v[80:81] offset:15232                    // 00000000A9DC: D89A3B80 00005014
	ds_write_b64 v20, v[82:83] offset:19584                    // 00000000A9E4: D89A4C80 00005214
	v_lshrrev_b32_e32 v4, 5, v0                                // 00000000A9EC: 20080085
	v_xor_b32_e32 v5, 1, v4                                    // 00000000A9F0: 2A0A0881
	s_mul_i32 s60, s65, 2                                      // 00000000A9F4: 923C8241
	s_cmp_eq_u32 s88, 0                                        // 00000000A9F8: BF068058
	s_cselect_b32 s61, 1, 4                                    // 00000000A9FC: 853D8481
	s_mul_i32 s60, s61, s60                                    // 00000000AA00: 923C3C3D
	v_readlane_b32 s82, v3, 0                                  // 00000000AA04: D2890052 00010103
	s_lshr_b32 s61, s82, 24                                    // 00000000AA0C: 8F3D9852
	s_and_b32 s82, s82, 0xffffff                               // 00000000AA10: 8652FF52 00FFFFFF
	s_mul_i32 s82, s82, s71                                    // 00000000AA18: 92524752
	s_mul_i32 s61, s60, s61                                    // 00000000AA1C: 923D3D3C
	s_add_u32 s82, s82, s61                                    // 00000000AA20: 80523D52
	v_mul_lo_u32 v6, v5, s82                                   // 00000000AA24: D2850006 0000A505
	v_readlane_b32 s82, v3, 1                                  // 00000000AA2C: D2890052 00010303
	s_lshr_b32 s61, s82, 24                                    // 00000000AA34: 8F3D9852
	s_and_b32 s82, s82, 0xffffff                               // 00000000AA38: 8652FF52 00FFFFFF
	s_mul_i32 s82, s82, s71                                    // 00000000AA40: 92524752
	s_mul_i32 s61, s60, s61                                    // 00000000AA44: 923D3D3C
	s_add_u32 s82, s82, s61                                    // 00000000AA48: 80523D52
	v_mul_lo_u32 v7, v4, s82                                   // 00000000AA4C: D2850007 0000A504
	v_add_u32_e32 v50, v6, v7                                  // 00000000AA54: 68640F06
	v_readlane_b32 s82, v3, 2                                  // 00000000AA58: D2890052 00010503
	s_lshr_b32 s61, s82, 24                                    // 00000000AA60: 8F3D9852
	s_and_b32 s82, s82, 0xffffff                               // 00000000AA64: 8652FF52 00FFFFFF
	s_mul_i32 s82, s82, s71                                    // 00000000AA6C: 92524752
	s_mul_i32 s61, s60, s61                                    // 00000000AA70: 923D3D3C
	s_add_u32 s82, s82, s61                                    // 00000000AA74: 80523D52
	v_mul_lo_u32 v6, v5, s82                                   // 00000000AA78: D2850006 0000A505
	v_readlane_b32 s82, v3, 3                                  // 00000000AA80: D2890052 00010703
	s_lshr_b32 s61, s82, 24                                    // 00000000AA88: 8F3D9852
	s_and_b32 s82, s82, 0xffffff                               // 00000000AA8C: 8652FF52 00FFFFFF
	s_mul_i32 s82, s82, s71                                    // 00000000AA94: 92524752
	s_mul_i32 s61, s60, s61                                    // 00000000AA98: 923D3D3C
	s_add_u32 s82, s82, s61                                    // 00000000AA9C: 80523D52
	v_mul_lo_u32 v7, v4, s82                                   // 00000000AAA0: D2850007 0000A504
	v_add_u32_e32 v51, v6, v7                                  // 00000000AAA8: 68660F06
	v_readlane_b32 s82, v3, 4                                  // 00000000AAAC: D2890052 00010903
	s_lshr_b32 s61, s82, 24                                    // 00000000AAB4: 8F3D9852
	s_and_b32 s82, s82, 0xffffff                               // 00000000AAB8: 8652FF52 00FFFFFF
	s_mul_i32 s82, s82, s71                                    // 00000000AAC0: 92524752
	s_mul_i32 s61, s60, s61                                    // 00000000AAC4: 923D3D3C
	s_add_u32 s82, s82, s61                                    // 00000000AAC8: 80523D52
	v_mul_lo_u32 v6, v5, s82                                   // 00000000AACC: D2850006 0000A505
	v_readlane_b32 s82, v3, 5                                  // 00000000AAD4: D2890052 00010B03
	s_lshr_b32 s61, s82, 24                                    // 00000000AADC: 8F3D9852
	s_and_b32 s82, s82, 0xffffff                               // 00000000AAE0: 8652FF52 00FFFFFF
	s_mul_i32 s82, s82, s71                                    // 00000000AAE8: 92524752
	s_mul_i32 s61, s60, s61                                    // 00000000AAEC: 923D3D3C
	s_add_u32 s82, s82, s61                                    // 00000000AAF0: 80523D52
	v_mul_lo_u32 v7, v4, s82                                   // 00000000AAF4: D2850007 0000A504
	v_add_u32_e32 v52, v6, v7                                  // 00000000AAFC: 68680F06
	v_readlane_b32 s82, v3, 6                                  // 00000000AB00: D2890052 00010D03
	s_lshr_b32 s61, s82, 24                                    // 00000000AB08: 8F3D9852
	s_and_b32 s82, s82, 0xffffff                               // 00000000AB0C: 8652FF52 00FFFFFF
	s_mul_i32 s82, s82, s71                                    // 00000000AB14: 92524752
	s_mul_i32 s61, s60, s61                                    // 00000000AB18: 923D3D3C
	s_add_u32 s82, s82, s61                                    // 00000000AB1C: 80523D52
	v_mul_lo_u32 v6, v5, s82                                   // 00000000AB20: D2850006 0000A505
	v_readlane_b32 s82, v3, 7                                  // 00000000AB28: D2890052 00010F03
	s_lshr_b32 s61, s82, 24                                    // 00000000AB30: 8F3D9852
	s_and_b32 s82, s82, 0xffffff                               // 00000000AB34: 8652FF52 00FFFFFF
	s_mul_i32 s82, s82, s71                                    // 00000000AB3C: 92524752
	s_mul_i32 s61, s60, s61                                    // 00000000AB40: 923D3D3C
	s_add_u32 s82, s82, s61                                    // 00000000AB44: 80523D52
	v_mul_lo_u32 v7, v4, s82                                   // 00000000AB48: D2850007 0000A504
	v_add_u32_e32 v53, v6, v7                                  // 00000000AB50: 686A0F06
	v_readlane_b32 s82, v3, 8                                  // 00000000AB54: D2890052 00011103
	s_lshr_b32 s61, s82, 24                                    // 00000000AB5C: 8F3D9852
	s_and_b32 s82, s82, 0xffffff                               // 00000000AB60: 8652FF52 00FFFFFF
	s_mul_i32 s82, s82, s71                                    // 00000000AB68: 92524752
	s_mul_i32 s61, s60, s61                                    // 00000000AB6C: 923D3D3C
	s_add_u32 s82, s82, s61                                    // 00000000AB70: 80523D52
	v_mul_lo_u32 v6, v5, s82                                   // 00000000AB74: D2850006 0000A505
	v_readlane_b32 s82, v3, 9                                  // 00000000AB7C: D2890052 00011303
	s_lshr_b32 s61, s82, 24                                    // 00000000AB84: 8F3D9852
	s_and_b32 s82, s82, 0xffffff                               // 00000000AB88: 8652FF52 00FFFFFF
	s_mul_i32 s82, s82, s71                                    // 00000000AB90: 92524752
	s_mul_i32 s61, s60, s61                                    // 00000000AB94: 923D3D3C
	s_add_u32 s82, s82, s61                                    // 00000000AB98: 80523D52
	v_mul_lo_u32 v7, v4, s82                                   // 00000000AB9C: D2850007 0000A504
	v_add_u32_e32 v54, v6, v7                                  // 00000000ABA4: 686C0F06
	v_readlane_b32 s82, v3, 10                                 // 00000000ABA8: D2890052 00011503
	s_lshr_b32 s61, s82, 24                                    // 00000000ABB0: 8F3D9852
	s_and_b32 s82, s82, 0xffffff                               // 00000000ABB4: 8652FF52 00FFFFFF
	s_mul_i32 s82, s82, s71                                    // 00000000ABBC: 92524752
	s_mul_i32 s61, s60, s61                                    // 00000000ABC0: 923D3D3C
	s_add_u32 s82, s82, s61                                    // 00000000ABC4: 80523D52
	v_mul_lo_u32 v6, v5, s82                                   // 00000000ABC8: D2850006 0000A505
	v_readlane_b32 s82, v3, 11                                 // 00000000ABD0: D2890052 00011703
	s_lshr_b32 s61, s82, 24                                    // 00000000ABD8: 8F3D9852
	s_and_b32 s82, s82, 0xffffff                               // 00000000ABDC: 8652FF52 00FFFFFF
	s_mul_i32 s82, s82, s71                                    // 00000000ABE4: 92524752
	s_mul_i32 s61, s60, s61                                    // 00000000ABE8: 923D3D3C
	s_add_u32 s82, s82, s61                                    // 00000000ABEC: 80523D52
	v_mul_lo_u32 v7, v4, s82                                   // 00000000ABF0: D2850007 0000A504
	v_add_u32_e32 v55, v6, v7                                  // 00000000ABF8: 686E0F06
	v_readlane_b32 s82, v3, 12                                 // 00000000ABFC: D2890052 00011903
	s_lshr_b32 s61, s82, 24                                    // 00000000AC04: 8F3D9852
	s_and_b32 s82, s82, 0xffffff                               // 00000000AC08: 8652FF52 00FFFFFF
	s_mul_i32 s82, s82, s71                                    // 00000000AC10: 92524752
	s_mul_i32 s61, s60, s61                                    // 00000000AC14: 923D3D3C
	s_add_u32 s82, s82, s61                                    // 00000000AC18: 80523D52
	v_mul_lo_u32 v6, v5, s82                                   // 00000000AC1C: D2850006 0000A505
	v_readlane_b32 s82, v3, 13                                 // 00000000AC24: D2890052 00011B03
	s_lshr_b32 s61, s82, 24                                    // 00000000AC2C: 8F3D9852
	s_and_b32 s82, s82, 0xffffff                               // 00000000AC30: 8652FF52 00FFFFFF
	s_mul_i32 s82, s82, s71                                    // 00000000AC38: 92524752
	s_mul_i32 s61, s60, s61                                    // 00000000AC3C: 923D3D3C
	s_add_u32 s82, s82, s61                                    // 00000000AC40: 80523D52
	v_mul_lo_u32 v7, v4, s82                                   // 00000000AC44: D2850007 0000A504
	v_add_u32_e32 v56, v6, v7                                  // 00000000AC4C: 68700F06
	v_readlane_b32 s82, v3, 14                                 // 00000000AC50: D2890052 00011D03
	s_lshr_b32 s61, s82, 24                                    // 00000000AC58: 8F3D9852
	s_and_b32 s82, s82, 0xffffff                               // 00000000AC5C: 8652FF52 00FFFFFF
	s_mul_i32 s82, s82, s71                                    // 00000000AC64: 92524752
	s_mul_i32 s61, s60, s61                                    // 00000000AC68: 923D3D3C
	s_add_u32 s82, s82, s61                                    // 00000000AC6C: 80523D52
	v_mul_lo_u32 v6, v5, s82                                   // 00000000AC70: D2850006 0000A505
	v_readlane_b32 s82, v3, 15                                 // 00000000AC78: D2890052 00011F03
	s_lshr_b32 s61, s82, 24                                    // 00000000AC80: 8F3D9852
	s_and_b32 s82, s82, 0xffffff                               // 00000000AC84: 8652FF52 00FFFFFF
	s_mul_i32 s82, s82, s71                                    // 00000000AC8C: 92524752
	s_mul_i32 s61, s60, s61                                    // 00000000AC90: 923D3D3C
	s_add_u32 s82, s82, s61                                    // 00000000AC94: 80523D52
	v_mul_lo_u32 v7, v4, s82                                   // 00000000AC98: D2850007 0000A504
	v_add_u32_e32 v57, v6, v7                                  // 00000000ACA0: 68720F06
	v_readlane_b32 s82, v3, 16                                 // 00000000ACA4: D2890052 00012103
	s_lshr_b32 s61, s82, 24                                    // 00000000ACAC: 8F3D9852
	s_and_b32 s82, s82, 0xffffff                               // 00000000ACB0: 8652FF52 00FFFFFF
	s_mul_i32 s82, s82, s71                                    // 00000000ACB8: 92524752
	s_mul_i32 s61, s60, s61                                    // 00000000ACBC: 923D3D3C
	s_add_u32 s82, s82, s61                                    // 00000000ACC0: 80523D52
	v_mul_lo_u32 v6, v5, s82                                   // 00000000ACC4: D2850006 0000A505
	v_readlane_b32 s82, v3, 17                                 // 00000000ACCC: D2890052 00012303
	s_lshr_b32 s61, s82, 24                                    // 00000000ACD4: 8F3D9852
	s_and_b32 s82, s82, 0xffffff                               // 00000000ACD8: 8652FF52 00FFFFFF
	s_mul_i32 s82, s82, s71                                    // 00000000ACE0: 92524752
	s_mul_i32 s61, s60, s61                                    // 00000000ACE4: 923D3D3C
	s_add_u32 s82, s82, s61                                    // 00000000ACE8: 80523D52
	v_mul_lo_u32 v7, v4, s82                                   // 00000000ACEC: D2850007 0000A504
	v_add_u32_e32 v58, v6, v7                                  // 00000000ACF4: 68740F06
	v_readlane_b32 s82, v3, 18                                 // 00000000ACF8: D2890052 00012503
	s_lshr_b32 s61, s82, 24                                    // 00000000AD00: 8F3D9852
	s_and_b32 s82, s82, 0xffffff                               // 00000000AD04: 8652FF52 00FFFFFF
	s_mul_i32 s82, s82, s71                                    // 00000000AD0C: 92524752
	s_mul_i32 s61, s60, s61                                    // 00000000AD10: 923D3D3C
	s_add_u32 s82, s82, s61                                    // 00000000AD14: 80523D52
	v_mul_lo_u32 v6, v5, s82                                   // 00000000AD18: D2850006 0000A505
	v_readlane_b32 s82, v3, 19                                 // 00000000AD20: D2890052 00012703
	s_lshr_b32 s61, s82, 24                                    // 00000000AD28: 8F3D9852
	s_and_b32 s82, s82, 0xffffff                               // 00000000AD2C: 8652FF52 00FFFFFF
	s_mul_i32 s82, s82, s71                                    // 00000000AD34: 92524752
	s_mul_i32 s61, s60, s61                                    // 00000000AD38: 923D3D3C
	s_add_u32 s82, s82, s61                                    // 00000000AD3C: 80523D52
	v_mul_lo_u32 v7, v4, s82                                   // 00000000AD40: D2850007 0000A504
	v_add_u32_e32 v59, v6, v7                                  // 00000000AD48: 68760F06
	v_and_b32_e32 v4, 31, v0                                   // 00000000AD4C: 2608009F
	v_lshrrev_b32_e32 v4, 1, v4                                // 00000000AD50: 20080881
	s_cmp_eq_u32 s88, 0                                        // 00000000AD54: BF068058
	s_cselect_b32 s61, 2, 4                                    // 00000000AD58: 853D8482
	v_mul_lo_u32 v4, v4, s61                                   // 00000000AD5C: D2850004 00007B04
	v_and_b32_e64 v5, v0, 1                                    // 00000000AD64: D1130005 00010300
	v_add_u32_e32 v4, v4, v5                                   // 00000000AD6C: 68080B04
	v_lshlrev_b32_e32 v4, 2, v4                                // 00000000AD70: 24080882
	v_add_u32_e32 v50, v50, v4                                 // 00000000AD74: 68640932
	v_add_u32_e32 v51, v51, v4                                 // 00000000AD78: 68660933
	v_add_u32_e32 v52, v52, v4                                 // 00000000AD7C: 68680934
	v_add_u32_e32 v53, v53, v4                                 // 00000000AD80: 686A0935
	v_add_u32_e32 v54, v54, v4                                 // 00000000AD84: 686C0936
	v_add_u32_e32 v55, v55, v4                                 // 00000000AD88: 686E0937
	v_add_u32_e32 v56, v56, v4                                 // 00000000AD8C: 68700938
	v_add_u32_e32 v57, v57, v4                                 // 00000000AD90: 68720939
	v_add_u32_e32 v58, v58, v4                                 // 00000000AD94: 6874093A
	v_add_u32_e32 v59, v59, v4                                 // 00000000AD98: 6876093B
	s_waitcnt lgkmcnt(0)                                       // 00000000AD9C: BF8CC07F
	s_barrier                                                  // 00000000ADA0: BF8A0000
	ds_read_b32 v64, v21                                       // 00000000ADA4: D86C0000 40000015
	ds_read_b32 v65, v21 offset:64                             // 00000000ADAC: D86C0040 41000015
	ds_read_b32 v66, v21 offset:2176                           // 00000000ADB4: D86C0880 42000015
	ds_read_b32 v67, v21 offset:2240                           // 00000000ADBC: D86C08C0 43000015
	ds_read_b32 v68, v21 offset:4352                           // 00000000ADC4: D86C1100 44000015
	ds_read_b32 v69, v21 offset:4416                           // 00000000ADCC: D86C1140 45000015
	ds_read_b32 v70, v21 offset:6528                           // 00000000ADD4: D86C1980 46000015
	ds_read_b32 v71, v21 offset:6592                           // 00000000ADDC: D86C19C0 47000015
	ds_read_b32 v72, v21 offset:8704                           // 00000000ADE4: D86C2200 48000015
	ds_read_b32 v73, v21 offset:8768                           // 00000000ADEC: D86C2240 49000015
	ds_read_b32 v74, v21 offset:10880                          // 00000000ADF4: D86C2A80 4A000015
	ds_read_b32 v75, v21 offset:10944                          // 00000000ADFC: D86C2AC0 4B000015
	ds_read_b32 v76, v21 offset:13056                          // 00000000AE04: D86C3300 4C000015
	ds_read_b32 v77, v21 offset:13120                          // 00000000AE0C: D86C3340 4D000015
	ds_read_b32 v78, v21 offset:15232                          // 00000000AE14: D86C3B80 4E000015
	ds_read_b32 v79, v21 offset:15296                          // 00000000AE1C: D86C3BC0 4F000015
	ds_read_b32 v80, v21 offset:17408                          // 00000000AE24: D86C4400 50000015
	ds_read_b32 v81, v21 offset:17472                          // 00000000AE2C: D86C4440 51000015
	ds_read_b32 v82, v21 offset:19584                          // 00000000AE34: D86C4C80 52000015
	ds_read_b32 v83, v21 offset:19648                          // 00000000AE3C: D86C4CC0 53000015
	s_waitcnt lgkmcnt(0)                                       // 00000000AE44: BF8CC07F
	s_mov_b32 s36, -1                                          // 00000000AE48: BEA400C1
	s_mov_b32 s37, -1                                          // 00000000AE4C: BEA500C1
	v_mov_b32_e32 v7, 0                                        // 00000000AE50: 7E0E0280
	s_or_b32 s9, s9, 0x40000                                   // 00000000AE54: 8709FF09 00040000
	s_mov_b64 exec, s[36:37]                                   // 00000000AE5C: BEFE0124
	v_mov_b32_e32 v6, v50                                      // 00000000AE60: 7E0C0332
	s_mov_b64 s[60:61], 0                                      // 00000000AE64: BEBC0180
	v_readlane_b32 s82, v3, 0                                  // 00000000AE68: D2890052 00010103
	s_and_b32 s82, s82, 0xffffff                               // 00000000AE70: 8652FF52 00FFFFFF
	s_cmp_lt_u32 s82, s66                                      // 00000000AE78: BF0A4252
	s_cselect_b32 s20, s36, s60                                // 00000000AE7C: 85143C24
	v_readlane_b32 s82, v3, 1                                  // 00000000AE80: D2890052 00010303
	s_and_b32 s82, s82, 0xffffff                               // 00000000AE88: 8652FF52 00FFFFFF
	s_cmp_lt_u32 s82, s66                                      // 00000000AE90: BF0A4252
	s_cselect_b32 s21, s36, s60                                // 00000000AE94: 85153C24
	s_mov_b64 exec, s[20:21]                                   // 00000000AE98: BEFE0114
	buffer_store_dword v64, v6, s[8:11], 0 offen               // 00000000AE9C: E0701000 80024006
	buffer_store_dword v66, v6, s[8:11], 0 offen offset:128    // 00000000AEA4: E0701080 80024206
	s_mov_b64 exec, s[36:37]                                   // 00000000AEAC: BEFE0124
	v_mov_b32_e32 v6, v51                                      // 00000000AEB0: 7E0C0333
	s_mov_b64 s[60:61], 0                                      // 00000000AEB4: BEBC0180
	v_readlane_b32 s82, v3, 2                                  // 00000000AEB8: D2890052 00010503
	s_and_b32 s82, s82, 0xffffff                               // 00000000AEC0: 8652FF52 00FFFFFF
	s_cmp_lt_u32 s82, s66                                      // 00000000AEC8: BF0A4252
	s_cselect_b32 s20, s36, s60                                // 00000000AECC: 85143C24
	v_readlane_b32 s82, v3, 3                                  // 00000000AED0: D2890052 00010703
	s_and_b32 s82, s82, 0xffffff                               // 00000000AED8: 8652FF52 00FFFFFF
	s_cmp_lt_u32 s82, s66                                      // 00000000AEE0: BF0A4252
	s_cselect_b32 s21, s36, s60                                // 00000000AEE4: 85153C24
	s_mov_b64 exec, s[20:21]                                   // 00000000AEE8: BEFE0114
	buffer_store_dword v65, v6, s[8:11], 0 offen               // 00000000AEEC: E0701000 80024106
	buffer_store_dword v67, v6, s[8:11], 0 offen offset:128    // 00000000AEF4: E0701080 80024306
	s_mov_b64 exec, s[36:37]                                   // 00000000AEFC: BEFE0124
	v_mov_b32_e32 v6, v52                                      // 00000000AF00: 7E0C0334
	s_mov_b64 s[60:61], 0                                      // 00000000AF04: BEBC0180
	v_readlane_b32 s82, v3, 4                                  // 00000000AF08: D2890052 00010903
	s_and_b32 s82, s82, 0xffffff                               // 00000000AF10: 8652FF52 00FFFFFF
	s_cmp_lt_u32 s82, s66                                      // 00000000AF18: BF0A4252
	s_cselect_b32 s20, s36, s60                                // 00000000AF1C: 85143C24
	v_readlane_b32 s82, v3, 5                                  // 00000000AF20: D2890052 00010B03
	s_and_b32 s82, s82, 0xffffff                               // 00000000AF28: 8652FF52 00FFFFFF
	s_cmp_lt_u32 s82, s66                                      // 00000000AF30: BF0A4252
	s_cselect_b32 s21, s36, s60                                // 00000000AF34: 85153C24
	s_mov_b64 exec, s[20:21]                                   // 00000000AF38: BEFE0114
	buffer_store_dword v68, v6, s[8:11], 0 offen               // 00000000AF3C: E0701000 80024406
	buffer_store_dword v70, v6, s[8:11], 0 offen offset:128    // 00000000AF44: E0701080 80024606
	s_mov_b64 exec, s[36:37]                                   // 00000000AF4C: BEFE0124
	v_mov_b32_e32 v6, v53                                      // 00000000AF50: 7E0C0335
	s_mov_b64 s[60:61], 0                                      // 00000000AF54: BEBC0180
	v_readlane_b32 s82, v3, 6                                  // 00000000AF58: D2890052 00010D03
	s_and_b32 s82, s82, 0xffffff                               // 00000000AF60: 8652FF52 00FFFFFF
	s_cmp_lt_u32 s82, s66                                      // 00000000AF68: BF0A4252
	s_cselect_b32 s20, s36, s60                                // 00000000AF6C: 85143C24
	v_readlane_b32 s82, v3, 7                                  // 00000000AF70: D2890052 00010F03
	s_and_b32 s82, s82, 0xffffff                               // 00000000AF78: 8652FF52 00FFFFFF
	s_cmp_lt_u32 s82, s66                                      // 00000000AF80: BF0A4252
	s_cselect_b32 s21, s36, s60                                // 00000000AF84: 85153C24
	s_mov_b64 exec, s[20:21]                                   // 00000000AF88: BEFE0114
	buffer_store_dword v69, v6, s[8:11], 0 offen               // 00000000AF8C: E0701000 80024506
	buffer_store_dword v71, v6, s[8:11], 0 offen offset:128    // 00000000AF94: E0701080 80024706
	s_mov_b64 exec, s[36:37]                                   // 00000000AF9C: BEFE0124
	v_mov_b32_e32 v6, v54                                      // 00000000AFA0: 7E0C0336
	s_mov_b64 s[60:61], 0                                      // 00000000AFA4: BEBC0180
	v_readlane_b32 s82, v3, 8                                  // 00000000AFA8: D2890052 00011103
	s_and_b32 s82, s82, 0xffffff                               // 00000000AFB0: 8652FF52 00FFFFFF
	s_cmp_lt_u32 s82, s66                                      // 00000000AFB8: BF0A4252
	s_cselect_b32 s20, s36, s60                                // 00000000AFBC: 85143C24
	v_readlane_b32 s82, v3, 9                                  // 00000000AFC0: D2890052 00011303
	s_and_b32 s82, s82, 0xffffff                               // 00000000AFC8: 8652FF52 00FFFFFF
	s_cmp_lt_u32 s82, s66                                      // 00000000AFD0: BF0A4252
	s_cselect_b32 s21, s36, s60                                // 00000000AFD4: 85153C24
	s_mov_b64 exec, s[20:21]                                   // 00000000AFD8: BEFE0114
	buffer_store_dword v72, v6, s[8:11], 0 offen               // 00000000AFDC: E0701000 80024806
	buffer_store_dword v74, v6, s[8:11], 0 offen offset:128    // 00000000AFE4: E0701080 80024A06
	s_mov_b64 exec, s[36:37]                                   // 00000000AFEC: BEFE0124
	v_mov_b32_e32 v6, v55                                      // 00000000AFF0: 7E0C0337
	s_mov_b64 s[60:61], 0                                      // 00000000AFF4: BEBC0180
	v_readlane_b32 s82, v3, 10                                 // 00000000AFF8: D2890052 00011503
	s_and_b32 s82, s82, 0xffffff                               // 00000000B000: 8652FF52 00FFFFFF
	s_cmp_lt_u32 s82, s66                                      // 00000000B008: BF0A4252
	s_cselect_b32 s20, s36, s60                                // 00000000B00C: 85143C24
	v_readlane_b32 s82, v3, 11                                 // 00000000B010: D2890052 00011703
	s_and_b32 s82, s82, 0xffffff                               // 00000000B018: 8652FF52 00FFFFFF
	s_cmp_lt_u32 s82, s66                                      // 00000000B020: BF0A4252
	s_cselect_b32 s21, s36, s60                                // 00000000B024: 85153C24
	s_mov_b64 exec, s[20:21]                                   // 00000000B028: BEFE0114
	buffer_store_dword v73, v6, s[8:11], 0 offen               // 00000000B02C: E0701000 80024906
	buffer_store_dword v75, v6, s[8:11], 0 offen offset:128    // 00000000B034: E0701080 80024B06
	s_mov_b64 exec, s[36:37]                                   // 00000000B03C: BEFE0124
	v_mov_b32_e32 v6, v56                                      // 00000000B040: 7E0C0338
	s_mov_b64 s[60:61], 0                                      // 00000000B044: BEBC0180
	v_readlane_b32 s82, v3, 12                                 // 00000000B048: D2890052 00011903
	s_and_b32 s82, s82, 0xffffff                               // 00000000B050: 8652FF52 00FFFFFF
	s_cmp_lt_u32 s82, s66                                      // 00000000B058: BF0A4252
	s_cselect_b32 s20, s36, s60                                // 00000000B05C: 85143C24
	v_readlane_b32 s82, v3, 13                                 // 00000000B060: D2890052 00011B03
	s_and_b32 s82, s82, 0xffffff                               // 00000000B068: 8652FF52 00FFFFFF
	s_cmp_lt_u32 s82, s66                                      // 00000000B070: BF0A4252
	s_cselect_b32 s21, s36, s60                                // 00000000B074: 85153C24
	s_mov_b64 exec, s[20:21]                                   // 00000000B078: BEFE0114
	buffer_store_dword v76, v6, s[8:11], 0 offen               // 00000000B07C: E0701000 80024C06
	buffer_store_dword v78, v6, s[8:11], 0 offen offset:128    // 00000000B084: E0701080 80024E06
	s_mov_b64 exec, s[36:37]                                   // 00000000B08C: BEFE0124
	v_mov_b32_e32 v6, v57                                      // 00000000B090: 7E0C0339
	s_mov_b64 s[60:61], 0                                      // 00000000B094: BEBC0180
	v_readlane_b32 s82, v3, 14                                 // 00000000B098: D2890052 00011D03
	s_and_b32 s82, s82, 0xffffff                               // 00000000B0A0: 8652FF52 00FFFFFF
	s_cmp_lt_u32 s82, s66                                      // 00000000B0A8: BF0A4252
	s_cselect_b32 s20, s36, s60                                // 00000000B0AC: 85143C24
	v_readlane_b32 s82, v3, 15                                 // 00000000B0B0: D2890052 00011F03
	s_and_b32 s82, s82, 0xffffff                               // 00000000B0B8: 8652FF52 00FFFFFF
	s_cmp_lt_u32 s82, s66                                      // 00000000B0C0: BF0A4252
	s_cselect_b32 s21, s36, s60                                // 00000000B0C4: 85153C24
	s_mov_b64 exec, s[20:21]                                   // 00000000B0C8: BEFE0114
	buffer_store_dword v77, v6, s[8:11], 0 offen               // 00000000B0CC: E0701000 80024D06
	buffer_store_dword v79, v6, s[8:11], 0 offen offset:128    // 00000000B0D4: E0701080 80024F06
	s_mov_b64 exec, s[36:37]                                   // 00000000B0DC: BEFE0124
	v_mov_b32_e32 v6, v58                                      // 00000000B0E0: 7E0C033A
	s_mov_b64 s[60:61], 0                                      // 00000000B0E4: BEBC0180
	v_readlane_b32 s82, v3, 16                                 // 00000000B0E8: D2890052 00012103
	s_and_b32 s82, s82, 0xffffff                               // 00000000B0F0: 8652FF52 00FFFFFF
	s_cmp_lt_u32 s82, s66                                      // 00000000B0F8: BF0A4252
	s_cselect_b32 s20, s36, s60                                // 00000000B0FC: 85143C24
	v_readlane_b32 s82, v3, 17                                 // 00000000B100: D2890052 00012303
	s_and_b32 s82, s82, 0xffffff                               // 00000000B108: 8652FF52 00FFFFFF
	s_cmp_lt_u32 s82, s66                                      // 00000000B110: BF0A4252
	s_cselect_b32 s21, s36, s60                                // 00000000B114: 85153C24
	s_mov_b64 exec, s[20:21]                                   // 00000000B118: BEFE0114
	buffer_store_dword v80, v6, s[8:11], 0 offen               // 00000000B11C: E0701000 80025006
	buffer_store_dword v82, v6, s[8:11], 0 offen offset:128    // 00000000B124: E0701080 80025206
	s_mov_b64 exec, s[36:37]                                   // 00000000B12C: BEFE0124
	v_mov_b32_e32 v6, v59                                      // 00000000B130: 7E0C033B
	s_mov_b64 s[60:61], 0                                      // 00000000B134: BEBC0180
	v_readlane_b32 s82, v3, 18                                 // 00000000B138: D2890052 00012503
	s_and_b32 s82, s82, 0xffffff                               // 00000000B140: 8652FF52 00FFFFFF
	s_cmp_lt_u32 s82, s66                                      // 00000000B148: BF0A4252
	s_cselect_b32 s20, s36, s60                                // 00000000B14C: 85143C24
	v_readlane_b32 s82, v3, 19                                 // 00000000B150: D2890052 00012703
	s_and_b32 s82, s82, 0xffffff                               // 00000000B158: 8652FF52 00FFFFFF
	s_cmp_lt_u32 s82, s66                                      // 00000000B160: BF0A4252
	s_cselect_b32 s21, s36, s60                                // 00000000B164: 85153C24
	s_mov_b64 exec, s[20:21]                                   // 00000000B168: BEFE0114
	buffer_store_dword v81, v6, s[8:11], 0 offen               // 00000000B16C: E0701000 80025106
	buffer_store_dword v83, v6, s[8:11], 0 offen offset:128    // 00000000B174: E0701080 80025306
	s_mov_b64 exec, s[36:37]                                   // 00000000B17C: BEFE0124
	s_branch label_26FA                                        // 00000000B180: BF820516

000000000000b184 <label_21E4>:
	ds_write_b64 v20, v[64:65]                                 // 00000000B184: D89A0000 00004014
	ds_write_b64 v20, v[68:69] offset:4352                     // 00000000B18C: D89A1100 00004414
	ds_write_b64 v20, v[72:73] offset:8704                     // 00000000B194: D89A2200 00004814
	ds_write_b64 v20, v[76:77] offset:13056                    // 00000000B19C: D89A3300 00004C14
	ds_write_b64 v20, v[80:81] offset:17408                    // 00000000B1A4: D89A4400 00005014
	ds_write_b64 v20, v[84:85] offset:2176                     // 00000000B1AC: D89A0880 00005414
	ds_write_b64 v20, v[88:89] offset:6528                     // 00000000B1B4: D89A1980 00005814
	ds_write_b64 v20, v[92:93] offset:10880                    // 00000000B1BC: D89A2A80 00005C14
	ds_write_b64 v20, v[96:97] offset:15232                    // 00000000B1C4: D89A3B80 00006014
	ds_write_b64 v20, v[100:101] offset:19584                  // 00000000B1CC: D89A4C80 00006414
	v_lshrrev_b32_e32 v4, 5, v0                                // 00000000B1D4: 20080085
	v_xor_b32_e32 v5, 1, v4                                    // 00000000B1D8: 2A0A0881
	s_mul_i32 s60, s65, 2                                      // 00000000B1DC: 923C8241
	s_cmp_eq_u32 s88, 0                                        // 00000000B1E0: BF068058
	s_cselect_b32 s61, 1, 4                                    // 00000000B1E4: 853D8481
	s_mul_i32 s60, s61, s60                                    // 00000000B1E8: 923C3C3D
	v_readlane_b32 s82, v3, 0                                  // 00000000B1EC: D2890052 00010103
	s_lshr_b32 s61, s82, 24                                    // 00000000B1F4: 8F3D9852
	s_and_b32 s82, s82, 0xffffff                               // 00000000B1F8: 8652FF52 00FFFFFF
	s_mul_i32 s82, s82, s71                                    // 00000000B200: 92524752
	s_mul_i32 s61, s60, s61                                    // 00000000B204: 923D3D3C
	s_add_u32 s82, s82, s61                                    // 00000000B208: 80523D52
	v_mul_lo_u32 v6, v5, s82                                   // 00000000B20C: D2850006 0000A505
	v_readlane_b32 s82, v3, 1                                  // 00000000B214: D2890052 00010303
	s_lshr_b32 s61, s82, 24                                    // 00000000B21C: 8F3D9852
	s_and_b32 s82, s82, 0xffffff                               // 00000000B220: 8652FF52 00FFFFFF
	s_mul_i32 s82, s82, s71                                    // 00000000B228: 92524752
	s_mul_i32 s61, s60, s61                                    // 00000000B22C: 923D3D3C
	s_add_u32 s82, s82, s61                                    // 00000000B230: 80523D52
	v_mul_lo_u32 v7, v4, s82                                   // 00000000B234: D2850007 0000A504
	v_add_u32_e32 v50, v6, v7                                  // 00000000B23C: 68640F06
	v_readlane_b32 s82, v3, 2                                  // 00000000B240: D2890052 00010503
	s_lshr_b32 s61, s82, 24                                    // 00000000B248: 8F3D9852
	s_and_b32 s82, s82, 0xffffff                               // 00000000B24C: 8652FF52 00FFFFFF
	s_mul_i32 s82, s82, s71                                    // 00000000B254: 92524752
	s_mul_i32 s61, s60, s61                                    // 00000000B258: 923D3D3C
	s_add_u32 s82, s82, s61                                    // 00000000B25C: 80523D52
	v_mul_lo_u32 v6, v5, s82                                   // 00000000B260: D2850006 0000A505
	v_readlane_b32 s82, v3, 3                                  // 00000000B268: D2890052 00010703
	s_lshr_b32 s61, s82, 24                                    // 00000000B270: 8F3D9852
	s_and_b32 s82, s82, 0xffffff                               // 00000000B274: 8652FF52 00FFFFFF
	s_mul_i32 s82, s82, s71                                    // 00000000B27C: 92524752
	s_mul_i32 s61, s60, s61                                    // 00000000B280: 923D3D3C
	s_add_u32 s82, s82, s61                                    // 00000000B284: 80523D52
	v_mul_lo_u32 v7, v4, s82                                   // 00000000B288: D2850007 0000A504
	v_add_u32_e32 v51, v6, v7                                  // 00000000B290: 68660F06
	v_readlane_b32 s82, v3, 4                                  // 00000000B294: D2890052 00010903
	s_lshr_b32 s61, s82, 24                                    // 00000000B29C: 8F3D9852
	s_and_b32 s82, s82, 0xffffff                               // 00000000B2A0: 8652FF52 00FFFFFF
	s_mul_i32 s82, s82, s71                                    // 00000000B2A8: 92524752
	s_mul_i32 s61, s60, s61                                    // 00000000B2AC: 923D3D3C
	s_add_u32 s82, s82, s61                                    // 00000000B2B0: 80523D52
	v_mul_lo_u32 v6, v5, s82                                   // 00000000B2B4: D2850006 0000A505
	v_readlane_b32 s82, v3, 5                                  // 00000000B2BC: D2890052 00010B03
	s_lshr_b32 s61, s82, 24                                    // 00000000B2C4: 8F3D9852
	s_and_b32 s82, s82, 0xffffff                               // 00000000B2C8: 8652FF52 00FFFFFF
	s_mul_i32 s82, s82, s71                                    // 00000000B2D0: 92524752
	s_mul_i32 s61, s60, s61                                    // 00000000B2D4: 923D3D3C
	s_add_u32 s82, s82, s61                                    // 00000000B2D8: 80523D52
	v_mul_lo_u32 v7, v4, s82                                   // 00000000B2DC: D2850007 0000A504
	v_add_u32_e32 v52, v6, v7                                  // 00000000B2E4: 68680F06
	v_readlane_b32 s82, v3, 6                                  // 00000000B2E8: D2890052 00010D03
	s_lshr_b32 s61, s82, 24                                    // 00000000B2F0: 8F3D9852
	s_and_b32 s82, s82, 0xffffff                               // 00000000B2F4: 8652FF52 00FFFFFF
	s_mul_i32 s82, s82, s71                                    // 00000000B2FC: 92524752
	s_mul_i32 s61, s60, s61                                    // 00000000B300: 923D3D3C
	s_add_u32 s82, s82, s61                                    // 00000000B304: 80523D52
	v_mul_lo_u32 v6, v5, s82                                   // 00000000B308: D2850006 0000A505
	v_readlane_b32 s82, v3, 7                                  // 00000000B310: D2890052 00010F03
	s_lshr_b32 s61, s82, 24                                    // 00000000B318: 8F3D9852
	s_and_b32 s82, s82, 0xffffff                               // 00000000B31C: 8652FF52 00FFFFFF
	s_mul_i32 s82, s82, s71                                    // 00000000B324: 92524752
	s_mul_i32 s61, s60, s61                                    // 00000000B328: 923D3D3C
	s_add_u32 s82, s82, s61                                    // 00000000B32C: 80523D52
	v_mul_lo_u32 v7, v4, s82                                   // 00000000B330: D2850007 0000A504
	v_add_u32_e32 v53, v6, v7                                  // 00000000B338: 686A0F06
	v_readlane_b32 s82, v3, 8                                  // 00000000B33C: D2890052 00011103
	s_lshr_b32 s61, s82, 24                                    // 00000000B344: 8F3D9852
	s_and_b32 s82, s82, 0xffffff                               // 00000000B348: 8652FF52 00FFFFFF
	s_mul_i32 s82, s82, s71                                    // 00000000B350: 92524752
	s_mul_i32 s61, s60, s61                                    // 00000000B354: 923D3D3C
	s_add_u32 s82, s82, s61                                    // 00000000B358: 80523D52
	v_mul_lo_u32 v6, v5, s82                                   // 00000000B35C: D2850006 0000A505
	v_readlane_b32 s82, v3, 9                                  // 00000000B364: D2890052 00011303
	s_lshr_b32 s61, s82, 24                                    // 00000000B36C: 8F3D9852
	s_and_b32 s82, s82, 0xffffff                               // 00000000B370: 8652FF52 00FFFFFF
	s_mul_i32 s82, s82, s71                                    // 00000000B378: 92524752
	s_mul_i32 s61, s60, s61                                    // 00000000B37C: 923D3D3C
	s_add_u32 s82, s82, s61                                    // 00000000B380: 80523D52
	v_mul_lo_u32 v7, v4, s82                                   // 00000000B384: D2850007 0000A504
	v_add_u32_e32 v54, v6, v7                                  // 00000000B38C: 686C0F06
	v_readlane_b32 s82, v3, 10                                 // 00000000B390: D2890052 00011503
	s_lshr_b32 s61, s82, 24                                    // 00000000B398: 8F3D9852
	s_and_b32 s82, s82, 0xffffff                               // 00000000B39C: 8652FF52 00FFFFFF
	s_mul_i32 s82, s82, s71                                    // 00000000B3A4: 92524752
	s_mul_i32 s61, s60, s61                                    // 00000000B3A8: 923D3D3C
	s_add_u32 s82, s82, s61                                    // 00000000B3AC: 80523D52
	v_mul_lo_u32 v6, v5, s82                                   // 00000000B3B0: D2850006 0000A505
	v_readlane_b32 s82, v3, 11                                 // 00000000B3B8: D2890052 00011703
	s_lshr_b32 s61, s82, 24                                    // 00000000B3C0: 8F3D9852
	s_and_b32 s82, s82, 0xffffff                               // 00000000B3C4: 8652FF52 00FFFFFF
	s_mul_i32 s82, s82, s71                                    // 00000000B3CC: 92524752
	s_mul_i32 s61, s60, s61                                    // 00000000B3D0: 923D3D3C
	s_add_u32 s82, s82, s61                                    // 00000000B3D4: 80523D52
	v_mul_lo_u32 v7, v4, s82                                   // 00000000B3D8: D2850007 0000A504
	v_add_u32_e32 v55, v6, v7                                  // 00000000B3E0: 686E0F06
	v_readlane_b32 s82, v3, 12                                 // 00000000B3E4: D2890052 00011903
	s_lshr_b32 s61, s82, 24                                    // 00000000B3EC: 8F3D9852
	s_and_b32 s82, s82, 0xffffff                               // 00000000B3F0: 8652FF52 00FFFFFF
	s_mul_i32 s82, s82, s71                                    // 00000000B3F8: 92524752
	s_mul_i32 s61, s60, s61                                    // 00000000B3FC: 923D3D3C
	s_add_u32 s82, s82, s61                                    // 00000000B400: 80523D52
	v_mul_lo_u32 v6, v5, s82                                   // 00000000B404: D2850006 0000A505
	v_readlane_b32 s82, v3, 13                                 // 00000000B40C: D2890052 00011B03
	s_lshr_b32 s61, s82, 24                                    // 00000000B414: 8F3D9852
	s_and_b32 s82, s82, 0xffffff                               // 00000000B418: 8652FF52 00FFFFFF
	s_mul_i32 s82, s82, s71                                    // 00000000B420: 92524752
	s_mul_i32 s61, s60, s61                                    // 00000000B424: 923D3D3C
	s_add_u32 s82, s82, s61                                    // 00000000B428: 80523D52
	v_mul_lo_u32 v7, v4, s82                                   // 00000000B42C: D2850007 0000A504
	v_add_u32_e32 v56, v6, v7                                  // 00000000B434: 68700F06
	v_readlane_b32 s82, v3, 14                                 // 00000000B438: D2890052 00011D03
	s_lshr_b32 s61, s82, 24                                    // 00000000B440: 8F3D9852
	s_and_b32 s82, s82, 0xffffff                               // 00000000B444: 8652FF52 00FFFFFF
	s_mul_i32 s82, s82, s71                                    // 00000000B44C: 92524752
	s_mul_i32 s61, s60, s61                                    // 00000000B450: 923D3D3C
	s_add_u32 s82, s82, s61                                    // 00000000B454: 80523D52
	v_mul_lo_u32 v6, v5, s82                                   // 00000000B458: D2850006 0000A505
	v_readlane_b32 s82, v3, 15                                 // 00000000B460: D2890052 00011F03
	s_lshr_b32 s61, s82, 24                                    // 00000000B468: 8F3D9852
	s_and_b32 s82, s82, 0xffffff                               // 00000000B46C: 8652FF52 00FFFFFF
	s_mul_i32 s82, s82, s71                                    // 00000000B474: 92524752
	s_mul_i32 s61, s60, s61                                    // 00000000B478: 923D3D3C
	s_add_u32 s82, s82, s61                                    // 00000000B47C: 80523D52
	v_mul_lo_u32 v7, v4, s82                                   // 00000000B480: D2850007 0000A504
	v_add_u32_e32 v57, v6, v7                                  // 00000000B488: 68720F06
	v_readlane_b32 s82, v3, 16                                 // 00000000B48C: D2890052 00012103
	s_lshr_b32 s61, s82, 24                                    // 00000000B494: 8F3D9852
	s_and_b32 s82, s82, 0xffffff                               // 00000000B498: 8652FF52 00FFFFFF
	s_mul_i32 s82, s82, s71                                    // 00000000B4A0: 92524752
	s_mul_i32 s61, s60, s61                                    // 00000000B4A4: 923D3D3C
	s_add_u32 s82, s82, s61                                    // 00000000B4A8: 80523D52
	v_mul_lo_u32 v6, v5, s82                                   // 00000000B4AC: D2850006 0000A505
	v_readlane_b32 s82, v3, 17                                 // 00000000B4B4: D2890052 00012303
	s_lshr_b32 s61, s82, 24                                    // 00000000B4BC: 8F3D9852
	s_and_b32 s82, s82, 0xffffff                               // 00000000B4C0: 8652FF52 00FFFFFF
	s_mul_i32 s82, s82, s71                                    // 00000000B4C8: 92524752
	s_mul_i32 s61, s60, s61                                    // 00000000B4CC: 923D3D3C
	s_add_u32 s82, s82, s61                                    // 00000000B4D0: 80523D52
	v_mul_lo_u32 v7, v4, s82                                   // 00000000B4D4: D2850007 0000A504
	v_add_u32_e32 v58, v6, v7                                  // 00000000B4DC: 68740F06
	v_readlane_b32 s82, v3, 18                                 // 00000000B4E0: D2890052 00012503
	s_lshr_b32 s61, s82, 24                                    // 00000000B4E8: 8F3D9852
	s_and_b32 s82, s82, 0xffffff                               // 00000000B4EC: 8652FF52 00FFFFFF
	s_mul_i32 s82, s82, s71                                    // 00000000B4F4: 92524752
	s_mul_i32 s61, s60, s61                                    // 00000000B4F8: 923D3D3C
	s_add_u32 s82, s82, s61                                    // 00000000B4FC: 80523D52
	v_mul_lo_u32 v6, v5, s82                                   // 00000000B500: D2850006 0000A505
	v_readlane_b32 s82, v3, 19                                 // 00000000B508: D2890052 00012703
	s_lshr_b32 s61, s82, 24                                    // 00000000B510: 8F3D9852
	s_and_b32 s82, s82, 0xffffff                               // 00000000B514: 8652FF52 00FFFFFF
	s_mul_i32 s82, s82, s71                                    // 00000000B51C: 92524752
	s_mul_i32 s61, s60, s61                                    // 00000000B520: 923D3D3C
	s_add_u32 s82, s82, s61                                    // 00000000B524: 80523D52
	v_mul_lo_u32 v7, v4, s82                                   // 00000000B528: D2850007 0000A504
	v_add_u32_e32 v59, v6, v7                                  // 00000000B530: 68760F06
	v_and_b32_e32 v4, 31, v0                                   // 00000000B534: 2608009F
	v_lshrrev_b32_e32 v4, 1, v4                                // 00000000B538: 20080881
	s_cmp_eq_u32 s88, 0                                        // 00000000B53C: BF068058
	s_cselect_b32 s61, 2, 4                                    // 00000000B540: 853D8482
	v_mul_lo_u32 v4, v4, s61                                   // 00000000B544: D2850004 00007B04
	v_and_b32_e64 v5, v0, 1                                    // 00000000B54C: D1130005 00010300
	v_add_u32_e32 v4, v4, v5                                   // 00000000B554: 68080B04
	v_lshlrev_b32_e32 v4, 2, v4                                // 00000000B558: 24080882
	v_add_u32_e32 v50, v50, v4                                 // 00000000B55C: 68640932
	v_add_u32_e32 v51, v51, v4                                 // 00000000B560: 68660933
	v_add_u32_e32 v52, v52, v4                                 // 00000000B564: 68680934
	v_add_u32_e32 v53, v53, v4                                 // 00000000B568: 686A0935
	v_add_u32_e32 v54, v54, v4                                 // 00000000B56C: 686C0936
	v_add_u32_e32 v55, v55, v4                                 // 00000000B570: 686E0937
	v_add_u32_e32 v56, v56, v4                                 // 00000000B574: 68700938
	v_add_u32_e32 v57, v57, v4                                 // 00000000B578: 68720939
	v_add_u32_e32 v58, v58, v4                                 // 00000000B57C: 6874093A
	v_add_u32_e32 v59, v59, v4                                 // 00000000B580: 6876093B
	s_waitcnt lgkmcnt(0)                                       // 00000000B584: BF8CC07F
	s_barrier                                                  // 00000000B588: BF8A0000
	ds_read_b32 v64, v21                                       // 00000000B58C: D86C0000 40000015
	ds_read_b32 v65, v21 offset:64                             // 00000000B594: D86C0040 41000015
	ds_read_b32 v68, v21 offset:2176                           // 00000000B59C: D86C0880 44000015
	ds_read_b32 v69, v21 offset:2240                           // 00000000B5A4: D86C08C0 45000015
	ds_read_b32 v72, v21 offset:4352                           // 00000000B5AC: D86C1100 48000015
	ds_read_b32 v73, v21 offset:4416                           // 00000000B5B4: D86C1140 49000015
	ds_read_b32 v76, v21 offset:6528                           // 00000000B5BC: D86C1980 4C000015
	ds_read_b32 v77, v21 offset:6592                           // 00000000B5C4: D86C19C0 4D000015
	ds_read_b32 v80, v21 offset:8704                           // 00000000B5CC: D86C2200 50000015
	ds_read_b32 v81, v21 offset:8768                           // 00000000B5D4: D86C2240 51000015
	ds_read_b32 v84, v21 offset:10880                          // 00000000B5DC: D86C2A80 54000015
	ds_read_b32 v85, v21 offset:10944                          // 00000000B5E4: D86C2AC0 55000015
	ds_read_b32 v88, v21 offset:13056                          // 00000000B5EC: D86C3300 58000015
	ds_read_b32 v89, v21 offset:13120                          // 00000000B5F4: D86C3340 59000015
	ds_read_b32 v92, v21 offset:15232                          // 00000000B5FC: D86C3B80 5C000015
	ds_read_b32 v93, v21 offset:15296                          // 00000000B604: D86C3BC0 5D000015
	ds_read_b32 v96, v21 offset:17408                          // 00000000B60C: D86C4400 60000015
	ds_read_b32 v97, v21 offset:17472                          // 00000000B614: D86C4440 61000015
	ds_read_b32 v100, v21 offset:19584                         // 00000000B61C: D86C4C80 64000015
	ds_read_b32 v101, v21 offset:19648                         // 00000000B624: D86C4CC0 65000015
	s_waitcnt lgkmcnt(0)                                       // 00000000B62C: BF8CC07F
	s_mov_b32 s36, -1                                          // 00000000B630: BEA400C1
	s_mov_b32 s37, -1                                          // 00000000B634: BEA500C1
	v_mov_b32_e32 v7, 0                                        // 00000000B638: 7E0E0280
	s_mov_b64 exec, s[36:37]                                   // 00000000B63C: BEFE0124
	v_mov_b32_e32 v6, v50                                      // 00000000B640: 7E0C0332
	s_mov_b64 s[60:61], 0                                      // 00000000B644: BEBC0180
	v_readlane_b32 s82, v3, 0                                  // 00000000B648: D2890052 00010103
	s_and_b32 s82, s82, 0xffffff                               // 00000000B650: 8652FF52 00FFFFFF
	s_cmp_lt_u32 s82, s66                                      // 00000000B658: BF0A4252
	s_cselect_b32 s20, s36, s60                                // 00000000B65C: 85143C24
	v_readlane_b32 s82, v3, 1                                  // 00000000B660: D2890052 00010303
	s_and_b32 s82, s82, 0xffffff                               // 00000000B668: 8652FF52 00FFFFFF
	s_cmp_lt_u32 s82, s66                                      // 00000000B670: BF0A4252
	s_cselect_b32 s21, s36, s60                                // 00000000B674: 85153C24
	s_mov_b64 exec, s[20:21]                                   // 00000000B678: BEFE0114
	global_atomic_add_f32 v6, v64, s[8:9]                      // 00000000B67C: DD348000 00084006
	global_atomic_add_f32 v6, v68, s[8:9] offset:256           // 00000000B684: DD348100 00084406
	s_mov_b64 exec, s[36:37]                                   // 00000000B68C: BEFE0124
	v_mov_b32_e32 v6, v51                                      // 00000000B690: 7E0C0333
	s_mov_b64 s[60:61], 0                                      // 00000000B694: BEBC0180
	v_readlane_b32 s82, v3, 2                                  // 00000000B698: D2890052 00010503
	s_and_b32 s82, s82, 0xffffff                               // 00000000B6A0: 8652FF52 00FFFFFF
	s_cmp_lt_u32 s82, s66                                      // 00000000B6A8: BF0A4252
	s_cselect_b32 s20, s36, s60                                // 00000000B6AC: 85143C24
	v_readlane_b32 s82, v3, 3                                  // 00000000B6B0: D2890052 00010703
	s_and_b32 s82, s82, 0xffffff                               // 00000000B6B8: 8652FF52 00FFFFFF
	s_cmp_lt_u32 s82, s66                                      // 00000000B6C0: BF0A4252
	s_cselect_b32 s21, s36, s60                                // 00000000B6C4: 85153C24
	s_mov_b64 exec, s[20:21]                                   // 00000000B6C8: BEFE0114
	global_atomic_add_f32 v6, v65, s[8:9]                      // 00000000B6CC: DD348000 00084106
	global_atomic_add_f32 v6, v69, s[8:9] offset:256           // 00000000B6D4: DD348100 00084506
	s_mov_b64 exec, s[36:37]                                   // 00000000B6DC: BEFE0124
	v_mov_b32_e32 v6, v52                                      // 00000000B6E0: 7E0C0334
	s_mov_b64 s[60:61], 0                                      // 00000000B6E4: BEBC0180
	v_readlane_b32 s82, v3, 4                                  // 00000000B6E8: D2890052 00010903
	s_and_b32 s82, s82, 0xffffff                               // 00000000B6F0: 8652FF52 00FFFFFF
	s_cmp_lt_u32 s82, s66                                      // 00000000B6F8: BF0A4252
	s_cselect_b32 s20, s36, s60                                // 00000000B6FC: 85143C24
	v_readlane_b32 s82, v3, 5                                  // 00000000B700: D2890052 00010B03
	s_and_b32 s82, s82, 0xffffff                               // 00000000B708: 8652FF52 00FFFFFF
	s_cmp_lt_u32 s82, s66                                      // 00000000B710: BF0A4252
	s_cselect_b32 s21, s36, s60                                // 00000000B714: 85153C24
	s_mov_b64 exec, s[20:21]                                   // 00000000B718: BEFE0114
	global_atomic_add_f32 v6, v72, s[8:9]                      // 00000000B71C: DD348000 00084806
	global_atomic_add_f32 v6, v76, s[8:9] offset:256           // 00000000B724: DD348100 00084C06
	s_mov_b64 exec, s[36:37]                                   // 00000000B72C: BEFE0124
	v_mov_b32_e32 v6, v53                                      // 00000000B730: 7E0C0335
	s_mov_b64 s[60:61], 0                                      // 00000000B734: BEBC0180
	v_readlane_b32 s82, v3, 6                                  // 00000000B738: D2890052 00010D03
	s_and_b32 s82, s82, 0xffffff                               // 00000000B740: 8652FF52 00FFFFFF
	s_cmp_lt_u32 s82, s66                                      // 00000000B748: BF0A4252
	s_cselect_b32 s20, s36, s60                                // 00000000B74C: 85143C24
	v_readlane_b32 s82, v3, 7                                  // 00000000B750: D2890052 00010F03
	s_and_b32 s82, s82, 0xffffff                               // 00000000B758: 8652FF52 00FFFFFF
	s_cmp_lt_u32 s82, s66                                      // 00000000B760: BF0A4252
	s_cselect_b32 s21, s36, s60                                // 00000000B764: 85153C24
	s_mov_b64 exec, s[20:21]                                   // 00000000B768: BEFE0114
	global_atomic_add_f32 v6, v73, s[8:9]                      // 00000000B76C: DD348000 00084906
	global_atomic_add_f32 v6, v77, s[8:9] offset:256           // 00000000B774: DD348100 00084D06
	s_mov_b64 exec, s[36:37]                                   // 00000000B77C: BEFE0124
	v_mov_b32_e32 v6, v54                                      // 00000000B780: 7E0C0336
	s_mov_b64 s[60:61], 0                                      // 00000000B784: BEBC0180
	v_readlane_b32 s82, v3, 8                                  // 00000000B788: D2890052 00011103
	s_and_b32 s82, s82, 0xffffff                               // 00000000B790: 8652FF52 00FFFFFF
	s_cmp_lt_u32 s82, s66                                      // 00000000B798: BF0A4252
	s_cselect_b32 s20, s36, s60                                // 00000000B79C: 85143C24
	v_readlane_b32 s82, v3, 9                                  // 00000000B7A0: D2890052 00011303
	s_and_b32 s82, s82, 0xffffff                               // 00000000B7A8: 8652FF52 00FFFFFF
	s_cmp_lt_u32 s82, s66                                      // 00000000B7B0: BF0A4252
	s_cselect_b32 s21, s36, s60                                // 00000000B7B4: 85153C24
	s_mov_b64 exec, s[20:21]                                   // 00000000B7B8: BEFE0114
	global_atomic_add_f32 v6, v80, s[8:9]                      // 00000000B7BC: DD348000 00085006
	global_atomic_add_f32 v6, v84, s[8:9] offset:256           // 00000000B7C4: DD348100 00085406
	s_mov_b64 exec, s[36:37]                                   // 00000000B7CC: BEFE0124
	v_mov_b32_e32 v6, v55                                      // 00000000B7D0: 7E0C0337
	s_mov_b64 s[60:61], 0                                      // 00000000B7D4: BEBC0180
	v_readlane_b32 s82, v3, 10                                 // 00000000B7D8: D2890052 00011503
	s_and_b32 s82, s82, 0xffffff                               // 00000000B7E0: 8652FF52 00FFFFFF
	s_cmp_lt_u32 s82, s66                                      // 00000000B7E8: BF0A4252
	s_cselect_b32 s20, s36, s60                                // 00000000B7EC: 85143C24
	v_readlane_b32 s82, v3, 11                                 // 00000000B7F0: D2890052 00011703
	s_and_b32 s82, s82, 0xffffff                               // 00000000B7F8: 8652FF52 00FFFFFF
	s_cmp_lt_u32 s82, s66                                      // 00000000B800: BF0A4252
	s_cselect_b32 s21, s36, s60                                // 00000000B804: 85153C24
	s_mov_b64 exec, s[20:21]                                   // 00000000B808: BEFE0114
	global_atomic_add_f32 v6, v81, s[8:9]                      // 00000000B80C: DD348000 00085106
	global_atomic_add_f32 v6, v85, s[8:9] offset:256           // 00000000B814: DD348100 00085506
	s_mov_b64 exec, s[36:37]                                   // 00000000B81C: BEFE0124
	v_mov_b32_e32 v6, v56                                      // 00000000B820: 7E0C0338
	s_mov_b64 s[60:61], 0                                      // 00000000B824: BEBC0180
	v_readlane_b32 s82, v3, 12                                 // 00000000B828: D2890052 00011903
	s_and_b32 s82, s82, 0xffffff                               // 00000000B830: 8652FF52 00FFFFFF
	s_cmp_lt_u32 s82, s66                                      // 00000000B838: BF0A4252
	s_cselect_b32 s20, s36, s60                                // 00000000B83C: 85143C24
	v_readlane_b32 s82, v3, 13                                 // 00000000B840: D2890052 00011B03
	s_and_b32 s82, s82, 0xffffff                               // 00000000B848: 8652FF52 00FFFFFF
	s_cmp_lt_u32 s82, s66                                      // 00000000B850: BF0A4252
	s_cselect_b32 s21, s36, s60                                // 00000000B854: 85153C24
	s_mov_b64 exec, s[20:21]                                   // 00000000B858: BEFE0114
	global_atomic_add_f32 v6, v88, s[8:9]                      // 00000000B85C: DD348000 00085806
	global_atomic_add_f32 v6, v92, s[8:9] offset:256           // 00000000B864: DD348100 00085C06
	s_mov_b64 exec, s[36:37]                                   // 00000000B86C: BEFE0124
	v_mov_b32_e32 v6, v57                                      // 00000000B870: 7E0C0339
	s_mov_b64 s[60:61], 0                                      // 00000000B874: BEBC0180
	v_readlane_b32 s82, v3, 14                                 // 00000000B878: D2890052 00011D03
	s_and_b32 s82, s82, 0xffffff                               // 00000000B880: 8652FF52 00FFFFFF
	s_cmp_lt_u32 s82, s66                                      // 00000000B888: BF0A4252
	s_cselect_b32 s20, s36, s60                                // 00000000B88C: 85143C24
	v_readlane_b32 s82, v3, 15                                 // 00000000B890: D2890052 00011F03
	s_and_b32 s82, s82, 0xffffff                               // 00000000B898: 8652FF52 00FFFFFF
	s_cmp_lt_u32 s82, s66                                      // 00000000B8A0: BF0A4252
	s_cselect_b32 s21, s36, s60                                // 00000000B8A4: 85153C24
	s_mov_b64 exec, s[20:21]                                   // 00000000B8A8: BEFE0114
	global_atomic_add_f32 v6, v89, s[8:9]                      // 00000000B8AC: DD348000 00085906
	global_atomic_add_f32 v6, v93, s[8:9] offset:256           // 00000000B8B4: DD348100 00085D06
	s_mov_b64 exec, s[36:37]                                   // 00000000B8BC: BEFE0124
	v_mov_b32_e32 v6, v58                                      // 00000000B8C0: 7E0C033A
	s_mov_b64 s[60:61], 0                                      // 00000000B8C4: BEBC0180
	v_readlane_b32 s82, v3, 16                                 // 00000000B8C8: D2890052 00012103
	s_and_b32 s82, s82, 0xffffff                               // 00000000B8D0: 8652FF52 00FFFFFF
	s_cmp_lt_u32 s82, s66                                      // 00000000B8D8: BF0A4252
	s_cselect_b32 s20, s36, s60                                // 00000000B8DC: 85143C24
	v_readlane_b32 s82, v3, 17                                 // 00000000B8E0: D2890052 00012303
	s_and_b32 s82, s82, 0xffffff                               // 00000000B8E8: 8652FF52 00FFFFFF
	s_cmp_lt_u32 s82, s66                                      // 00000000B8F0: BF0A4252
	s_cselect_b32 s21, s36, s60                                // 00000000B8F4: 85153C24
	s_mov_b64 exec, s[20:21]                                   // 00000000B8F8: BEFE0114
	global_atomic_add_f32 v6, v96, s[8:9]                      // 00000000B8FC: DD348000 00086006
	global_atomic_add_f32 v6, v100, s[8:9] offset:256          // 00000000B904: DD348100 00086406
	s_mov_b64 exec, s[36:37]                                   // 00000000B90C: BEFE0124
	v_mov_b32_e32 v6, v59                                      // 00000000B910: 7E0C033B
	s_mov_b64 s[60:61], 0                                      // 00000000B914: BEBC0180
	v_readlane_b32 s82, v3, 18                                 // 00000000B918: D2890052 00012503
	s_and_b32 s82, s82, 0xffffff                               // 00000000B920: 8652FF52 00FFFFFF
	s_cmp_lt_u32 s82, s66                                      // 00000000B928: BF0A4252
	s_cselect_b32 s20, s36, s60                                // 00000000B92C: 85143C24
	v_readlane_b32 s82, v3, 19                                 // 00000000B930: D2890052 00012703
	s_and_b32 s82, s82, 0xffffff                               // 00000000B938: 8652FF52 00FFFFFF
	s_cmp_lt_u32 s82, s66                                      // 00000000B940: BF0A4252
	s_cselect_b32 s21, s36, s60                                // 00000000B944: 85153C24
	s_mov_b64 exec, s[20:21]                                   // 00000000B948: BEFE0114
	global_atomic_add_f32 v6, v97, s[8:9]                      // 00000000B94C: DD348000 00086106
	global_atomic_add_f32 v6, v101, s[8:9] offset:256          // 00000000B954: DD348100 00086506
	s_mov_b64 exec, s[36:37]                                   // 00000000B95C: BEFE0124
	ds_write_b64 v20, v[66:67]                                 // 00000000B960: D89A0000 00004214
	ds_write_b64 v20, v[70:71] offset:4352                     // 00000000B968: D89A1100 00004614
	ds_write_b64 v20, v[74:75] offset:8704                     // 00000000B970: D89A2200 00004A14
	ds_write_b64 v20, v[78:79] offset:13056                    // 00000000B978: D89A3300 00004E14
	ds_write_b64 v20, v[82:83] offset:17408                    // 00000000B980: D89A4400 00005214
	ds_write_b64 v20, v[86:87] offset:2176                     // 00000000B988: D89A0880 00005614
	ds_write_b64 v20, v[90:91] offset:6528                     // 00000000B990: D89A1980 00005A14
	ds_write_b64 v20, v[94:95] offset:10880                    // 00000000B998: D89A2A80 00005E14
	ds_write_b64 v20, v[98:99] offset:15232                    // 00000000B9A0: D89A3B80 00006214
	ds_write_b64 v20, v[102:103] offset:19584                  // 00000000B9A8: D89A4C80 00006614
	s_waitcnt lgkmcnt(0)                                       // 00000000B9B0: BF8CC07F
	s_barrier                                                  // 00000000B9B4: BF8A0000
	ds_read_b32 v66, v21                                       // 00000000B9B8: D86C0000 42000015
	ds_read_b32 v67, v21 offset:64                             // 00000000B9C0: D86C0040 43000015
	ds_read_b32 v70, v21 offset:2176                           // 00000000B9C8: D86C0880 46000015
	ds_read_b32 v71, v21 offset:2240                           // 00000000B9D0: D86C08C0 47000015
	ds_read_b32 v74, v21 offset:4352                           // 00000000B9D8: D86C1100 4A000015
	ds_read_b32 v75, v21 offset:4416                           // 00000000B9E0: D86C1140 4B000015
	ds_read_b32 v78, v21 offset:6528                           // 00000000B9E8: D86C1980 4E000015
	ds_read_b32 v79, v21 offset:6592                           // 00000000B9F0: D86C19C0 4F000015
	ds_read_b32 v82, v21 offset:8704                           // 00000000B9F8: D86C2200 52000015
	ds_read_b32 v83, v21 offset:8768                           // 00000000BA00: D86C2240 53000015
	ds_read_b32 v86, v21 offset:10880                          // 00000000BA08: D86C2A80 56000015
	ds_read_b32 v87, v21 offset:10944                          // 00000000BA10: D86C2AC0 57000015
	ds_read_b32 v90, v21 offset:13056                          // 00000000BA18: D86C3300 5A000015
	ds_read_b32 v91, v21 offset:13120                          // 00000000BA20: D86C3340 5B000015
	ds_read_b32 v94, v21 offset:15232                          // 00000000BA28: D86C3B80 5E000015
	ds_read_b32 v95, v21 offset:15296                          // 00000000BA30: D86C3BC0 5F000015
	ds_read_b32 v98, v21 offset:17408                          // 00000000BA38: D86C4400 62000015
	ds_read_b32 v99, v21 offset:17472                          // 00000000BA40: D86C4440 63000015
	ds_read_b32 v102, v21 offset:19584                         // 00000000BA48: D86C4C80 66000015
	ds_read_b32 v103, v21 offset:19648                         // 00000000BA50: D86C4CC0 67000015
	s_waitcnt lgkmcnt(0)                                       // 00000000BA58: BF8CC07F
	v_mov_b32_e32 v7, 0                                        // 00000000BA5C: 7E0E0280
	s_mov_b64 exec, s[36:37]                                   // 00000000BA60: BEFE0124
	v_mov_b32_e32 v6, v50                                      // 00000000BA64: 7E0C0332
	s_mov_b64 s[60:61], 0                                      // 00000000BA68: BEBC0180
	v_readlane_b32 s82, v3, 0                                  // 00000000BA6C: D2890052 00010103
	s_and_b32 s82, s82, 0xffffff                               // 00000000BA74: 8652FF52 00FFFFFF
	s_cmp_lt_u32 s82, s66                                      // 00000000BA7C: BF0A4252
	s_cselect_b32 s20, s36, s60                                // 00000000BA80: 85143C24
	v_readlane_b32 s82, v3, 1                                  // 00000000BA84: D2890052 00010303
	s_and_b32 s82, s82, 0xffffff                               // 00000000BA8C: 8652FF52 00FFFFFF
	s_cmp_lt_u32 s82, s66                                      // 00000000BA94: BF0A4252
	s_cselect_b32 s21, s36, s60                                // 00000000BA98: 85153C24
	s_mov_b64 exec, s[20:21]                                   // 00000000BA9C: BEFE0114
	global_atomic_add_f32 v6, v66, s[8:9] offset:8             // 00000000BAA0: DD348008 00084206
	global_atomic_add_f32 v6, v70, s[8:9] offset:264           // 00000000BAA8: DD348108 00084606
	s_mov_b64 exec, s[36:37]                                   // 00000000BAB0: BEFE0124
	v_mov_b32_e32 v6, v51                                      // 00000000BAB4: 7E0C0333
	s_mov_b64 s[60:61], 0                                      // 00000000BAB8: BEBC0180
	v_readlane_b32 s82, v3, 2                                  // 00000000BABC: D2890052 00010503
	s_and_b32 s82, s82, 0xffffff                               // 00000000BAC4: 8652FF52 00FFFFFF
	s_cmp_lt_u32 s82, s66                                      // 00000000BACC: BF0A4252
	s_cselect_b32 s20, s36, s60                                // 00000000BAD0: 85143C24
	v_readlane_b32 s82, v3, 3                                  // 00000000BAD4: D2890052 00010703
	s_and_b32 s82, s82, 0xffffff                               // 00000000BADC: 8652FF52 00FFFFFF
	s_cmp_lt_u32 s82, s66                                      // 00000000BAE4: BF0A4252
	s_cselect_b32 s21, s36, s60                                // 00000000BAE8: 85153C24
	s_mov_b64 exec, s[20:21]                                   // 00000000BAEC: BEFE0114
	global_atomic_add_f32 v6, v67, s[8:9] offset:8             // 00000000BAF0: DD348008 00084306
	global_atomic_add_f32 v6, v71, s[8:9] offset:264           // 00000000BAF8: DD348108 00084706
	s_mov_b64 exec, s[36:37]                                   // 00000000BB00: BEFE0124
	v_mov_b32_e32 v6, v52                                      // 00000000BB04: 7E0C0334
	s_mov_b64 s[60:61], 0                                      // 00000000BB08: BEBC0180
	v_readlane_b32 s82, v3, 4                                  // 00000000BB0C: D2890052 00010903
	s_and_b32 s82, s82, 0xffffff                               // 00000000BB14: 8652FF52 00FFFFFF
	s_cmp_lt_u32 s82, s66                                      // 00000000BB1C: BF0A4252
	s_cselect_b32 s20, s36, s60                                // 00000000BB20: 85143C24
	v_readlane_b32 s82, v3, 5                                  // 00000000BB24: D2890052 00010B03
	s_and_b32 s82, s82, 0xffffff                               // 00000000BB2C: 8652FF52 00FFFFFF
	s_cmp_lt_u32 s82, s66                                      // 00000000BB34: BF0A4252
	s_cselect_b32 s21, s36, s60                                // 00000000BB38: 85153C24
	s_mov_b64 exec, s[20:21]                                   // 00000000BB3C: BEFE0114
	global_atomic_add_f32 v6, v74, s[8:9] offset:8             // 00000000BB40: DD348008 00084A06
	global_atomic_add_f32 v6, v78, s[8:9] offset:264           // 00000000BB48: DD348108 00084E06
	s_mov_b64 exec, s[36:37]                                   // 00000000BB50: BEFE0124
	v_mov_b32_e32 v6, v53                                      // 00000000BB54: 7E0C0335
	s_mov_b64 s[60:61], 0                                      // 00000000BB58: BEBC0180
	v_readlane_b32 s82, v3, 6                                  // 00000000BB5C: D2890052 00010D03
	s_and_b32 s82, s82, 0xffffff                               // 00000000BB64: 8652FF52 00FFFFFF
	s_cmp_lt_u32 s82, s66                                      // 00000000BB6C: BF0A4252
	s_cselect_b32 s20, s36, s60                                // 00000000BB70: 85143C24
	v_readlane_b32 s82, v3, 7                                  // 00000000BB74: D2890052 00010F03
	s_and_b32 s82, s82, 0xffffff                               // 00000000BB7C: 8652FF52 00FFFFFF
	s_cmp_lt_u32 s82, s66                                      // 00000000BB84: BF0A4252
	s_cselect_b32 s21, s36, s60                                // 00000000BB88: 85153C24
	s_mov_b64 exec, s[20:21]                                   // 00000000BB8C: BEFE0114
	global_atomic_add_f32 v6, v75, s[8:9] offset:8             // 00000000BB90: DD348008 00084B06
	global_atomic_add_f32 v6, v79, s[8:9] offset:264           // 00000000BB98: DD348108 00084F06
	s_mov_b64 exec, s[36:37]                                   // 00000000BBA0: BEFE0124
	v_mov_b32_e32 v6, v54                                      // 00000000BBA4: 7E0C0336
	s_mov_b64 s[60:61], 0                                      // 00000000BBA8: BEBC0180
	v_readlane_b32 s82, v3, 8                                  // 00000000BBAC: D2890052 00011103
	s_and_b32 s82, s82, 0xffffff                               // 00000000BBB4: 8652FF52 00FFFFFF
	s_cmp_lt_u32 s82, s66                                      // 00000000BBBC: BF0A4252
	s_cselect_b32 s20, s36, s60                                // 00000000BBC0: 85143C24
	v_readlane_b32 s82, v3, 9                                  // 00000000BBC4: D2890052 00011303
	s_and_b32 s82, s82, 0xffffff                               // 00000000BBCC: 8652FF52 00FFFFFF
	s_cmp_lt_u32 s82, s66                                      // 00000000BBD4: BF0A4252
	s_cselect_b32 s21, s36, s60                                // 00000000BBD8: 85153C24
	s_mov_b64 exec, s[20:21]                                   // 00000000BBDC: BEFE0114
	global_atomic_add_f32 v6, v82, s[8:9] offset:8             // 00000000BBE0: DD348008 00085206
	global_atomic_add_f32 v6, v86, s[8:9] offset:264           // 00000000BBE8: DD348108 00085606
	s_mov_b64 exec, s[36:37]                                   // 00000000BBF0: BEFE0124
	v_mov_b32_e32 v6, v55                                      // 00000000BBF4: 7E0C0337
	s_mov_b64 s[60:61], 0                                      // 00000000BBF8: BEBC0180
	v_readlane_b32 s82, v3, 10                                 // 00000000BBFC: D2890052 00011503
	s_and_b32 s82, s82, 0xffffff                               // 00000000BC04: 8652FF52 00FFFFFF
	s_cmp_lt_u32 s82, s66                                      // 00000000BC0C: BF0A4252
	s_cselect_b32 s20, s36, s60                                // 00000000BC10: 85143C24
	v_readlane_b32 s82, v3, 11                                 // 00000000BC14: D2890052 00011703
	s_and_b32 s82, s82, 0xffffff                               // 00000000BC1C: 8652FF52 00FFFFFF
	s_cmp_lt_u32 s82, s66                                      // 00000000BC24: BF0A4252
	s_cselect_b32 s21, s36, s60                                // 00000000BC28: 85153C24
	s_mov_b64 exec, s[20:21]                                   // 00000000BC2C: BEFE0114
	global_atomic_add_f32 v6, v83, s[8:9] offset:8             // 00000000BC30: DD348008 00085306
	global_atomic_add_f32 v6, v87, s[8:9] offset:264           // 00000000BC38: DD348108 00085706
	s_mov_b64 exec, s[36:37]                                   // 00000000BC40: BEFE0124
	v_mov_b32_e32 v6, v56                                      // 00000000BC44: 7E0C0338
	s_mov_b64 s[60:61], 0                                      // 00000000BC48: BEBC0180
	v_readlane_b32 s82, v3, 12                                 // 00000000BC4C: D2890052 00011903
	s_and_b32 s82, s82, 0xffffff                               // 00000000BC54: 8652FF52 00FFFFFF
	s_cmp_lt_u32 s82, s66                                      // 00000000BC5C: BF0A4252
	s_cselect_b32 s20, s36, s60                                // 00000000BC60: 85143C24
	v_readlane_b32 s82, v3, 13                                 // 00000000BC64: D2890052 00011B03
	s_and_b32 s82, s82, 0xffffff                               // 00000000BC6C: 8652FF52 00FFFFFF
	s_cmp_lt_u32 s82, s66                                      // 00000000BC74: BF0A4252
	s_cselect_b32 s21, s36, s60                                // 00000000BC78: 85153C24
	s_mov_b64 exec, s[20:21]                                   // 00000000BC7C: BEFE0114
	global_atomic_add_f32 v6, v90, s[8:9] offset:8             // 00000000BC80: DD348008 00085A06
	global_atomic_add_f32 v6, v94, s[8:9] offset:264           // 00000000BC88: DD348108 00085E06
	s_mov_b64 exec, s[36:37]                                   // 00000000BC90: BEFE0124
	v_mov_b32_e32 v6, v57                                      // 00000000BC94: 7E0C0339
	s_mov_b64 s[60:61], 0                                      // 00000000BC98: BEBC0180
	v_readlane_b32 s82, v3, 14                                 // 00000000BC9C: D2890052 00011D03
	s_and_b32 s82, s82, 0xffffff                               // 00000000BCA4: 8652FF52 00FFFFFF
	s_cmp_lt_u32 s82, s66                                      // 00000000BCAC: BF0A4252
	s_cselect_b32 s20, s36, s60                                // 00000000BCB0: 85143C24
	v_readlane_b32 s82, v3, 15                                 // 00000000BCB4: D2890052 00011F03
	s_and_b32 s82, s82, 0xffffff                               // 00000000BCBC: 8652FF52 00FFFFFF
	s_cmp_lt_u32 s82, s66                                      // 00000000BCC4: BF0A4252
	s_cselect_b32 s21, s36, s60                                // 00000000BCC8: 85153C24
	s_mov_b64 exec, s[20:21]                                   // 00000000BCCC: BEFE0114
	global_atomic_add_f32 v6, v91, s[8:9] offset:8             // 00000000BCD0: DD348008 00085B06
	global_atomic_add_f32 v6, v95, s[8:9] offset:264           // 00000000BCD8: DD348108 00085F06
	s_mov_b64 exec, s[36:37]                                   // 00000000BCE0: BEFE0124
	v_mov_b32_e32 v6, v58                                      // 00000000BCE4: 7E0C033A
	s_mov_b64 s[60:61], 0                                      // 00000000BCE8: BEBC0180
	v_readlane_b32 s82, v3, 16                                 // 00000000BCEC: D2890052 00012103
	s_and_b32 s82, s82, 0xffffff                               // 00000000BCF4: 8652FF52 00FFFFFF
	s_cmp_lt_u32 s82, s66                                      // 00000000BCFC: BF0A4252
	s_cselect_b32 s20, s36, s60                                // 00000000BD00: 85143C24
	v_readlane_b32 s82, v3, 17                                 // 00000000BD04: D2890052 00012303
	s_and_b32 s82, s82, 0xffffff                               // 00000000BD0C: 8652FF52 00FFFFFF
	s_cmp_lt_u32 s82, s66                                      // 00000000BD14: BF0A4252
	s_cselect_b32 s21, s36, s60                                // 00000000BD18: 85153C24
	s_mov_b64 exec, s[20:21]                                   // 00000000BD1C: BEFE0114
	global_atomic_add_f32 v6, v98, s[8:9] offset:8             // 00000000BD20: DD348008 00086206
	global_atomic_add_f32 v6, v102, s[8:9] offset:264          // 00000000BD28: DD348108 00086606
	s_mov_b64 exec, s[36:37]                                   // 00000000BD30: BEFE0124
	v_mov_b32_e32 v6, v59                                      // 00000000BD34: 7E0C033B
	s_mov_b64 s[60:61], 0                                      // 00000000BD38: BEBC0180
	v_readlane_b32 s82, v3, 18                                 // 00000000BD3C: D2890052 00012503
	s_and_b32 s82, s82, 0xffffff                               // 00000000BD44: 8652FF52 00FFFFFF
	s_cmp_lt_u32 s82, s66                                      // 00000000BD4C: BF0A4252
	s_cselect_b32 s20, s36, s60                                // 00000000BD50: 85143C24
	v_readlane_b32 s82, v3, 19                                 // 00000000BD54: D2890052 00012703
	s_and_b32 s82, s82, 0xffffff                               // 00000000BD5C: 8652FF52 00FFFFFF
	s_cmp_lt_u32 s82, s66                                      // 00000000BD64: BF0A4252
	s_cselect_b32 s21, s36, s60                                // 00000000BD68: 85153C24
	s_mov_b64 exec, s[20:21]                                   // 00000000BD6C: BEFE0114
	global_atomic_add_f32 v6, v99, s[8:9] offset:8             // 00000000BD70: DD348008 00086306
	global_atomic_add_f32 v6, v103, s[8:9] offset:264          // 00000000BD78: DD348108 00086706
	s_mov_b64 exec, s[36:37]                                   // 00000000BD80: BEFE0124
	ds_write_b64 v20, v[104:105]                               // 00000000BD84: D89A0000 00006814
	ds_write_b64 v20, v[108:109] offset:4352                   // 00000000BD8C: D89A1100 00006C14
	ds_write_b64 v20, v[112:113] offset:8704                   // 00000000BD94: D89A2200 00007014
	ds_write_b64 v20, v[116:117] offset:13056                  // 00000000BD9C: D89A3300 00007414
	ds_write_b64 v20, v[120:121] offset:17408                  // 00000000BDA4: D89A4400 00007814
	ds_write_b64 v20, v[124:125] offset:2176                   // 00000000BDAC: D89A0880 00007C14
	ds_write_b64 v20, v[128:129] offset:6528                   // 00000000BDB4: D89A1980 00008014
	ds_write_b64 v20, v[132:133] offset:10880                  // 00000000BDBC: D89A2A80 00008414
	ds_write_b64 v20, v[136:137] offset:15232                  // 00000000BDC4: D89A3B80 00008814
	ds_write_b64 v20, v[140:141] offset:19584                  // 00000000BDCC: D89A4C80 00008C14
	s_waitcnt lgkmcnt(0)                                       // 00000000BDD4: BF8CC07F
	s_barrier                                                  // 00000000BDD8: BF8A0000
	ds_read_b32 v104, v21                                      // 00000000BDDC: D86C0000 68000015
	ds_read_b32 v105, v21 offset:64                            // 00000000BDE4: D86C0040 69000015
	ds_read_b32 v108, v21 offset:2176                          // 00000000BDEC: D86C0880 6C000015
	ds_read_b32 v109, v21 offset:2240                          // 00000000BDF4: D86C08C0 6D000015
	ds_read_b32 v112, v21 offset:4352                          // 00000000BDFC: D86C1100 70000015
	ds_read_b32 v113, v21 offset:4416                          // 00000000BE04: D86C1140 71000015
	ds_read_b32 v116, v21 offset:6528                          // 00000000BE0C: D86C1980 74000015
	ds_read_b32 v117, v21 offset:6592                          // 00000000BE14: D86C19C0 75000015
	ds_read_b32 v120, v21 offset:8704                          // 00000000BE1C: D86C2200 78000015
	ds_read_b32 v121, v21 offset:8768                          // 00000000BE24: D86C2240 79000015
	ds_read_b32 v124, v21 offset:10880                         // 00000000BE2C: D86C2A80 7C000015
	ds_read_b32 v125, v21 offset:10944                         // 00000000BE34: D86C2AC0 7D000015
	ds_read_b32 v128, v21 offset:13056                         // 00000000BE3C: D86C3300 80000015
	ds_read_b32 v129, v21 offset:13120                         // 00000000BE44: D86C3340 81000015
	ds_read_b32 v132, v21 offset:15232                         // 00000000BE4C: D86C3B80 84000015
	ds_read_b32 v133, v21 offset:15296                         // 00000000BE54: D86C3BC0 85000015
	ds_read_b32 v136, v21 offset:17408                         // 00000000BE5C: D86C4400 88000015
	ds_read_b32 v137, v21 offset:17472                         // 00000000BE64: D86C4440 89000015
	ds_read_b32 v140, v21 offset:19584                         // 00000000BE6C: D86C4C80 8C000015
	ds_read_b32 v141, v21 offset:19648                         // 00000000BE74: D86C4CC0 8D000015
	s_mul_i32 s60, s65, 4                                      // 00000000BE7C: 923C8441
	s_add_u32 s8, s60, s8                                      // 00000000BE80: 8008083C
	s_addc_u32 s9, 0, s9                                       // 00000000BE84: 82090980
	s_waitcnt lgkmcnt(0)                                       // 00000000BE88: BF8CC07F
	v_mov_b32_e32 v7, 0                                        // 00000000BE8C: 7E0E0280
	s_mov_b64 exec, s[36:37]                                   // 00000000BE90: BEFE0124
	v_mov_b32_e32 v6, v50                                      // 00000000BE94: 7E0C0332
	s_mov_b64 s[60:61], 0                                      // 00000000BE98: BEBC0180
	v_readlane_b32 s82, v3, 0                                  // 00000000BE9C: D2890052 00010103
	s_and_b32 s82, s82, 0xffffff                               // 00000000BEA4: 8652FF52 00FFFFFF
	s_cmp_lt_u32 s82, s66                                      // 00000000BEAC: BF0A4252
	s_cselect_b32 s20, s36, s60                                // 00000000BEB0: 85143C24
	v_readlane_b32 s82, v3, 1                                  // 00000000BEB4: D2890052 00010303
	s_and_b32 s82, s82, 0xffffff                               // 00000000BEBC: 8652FF52 00FFFFFF
	s_cmp_lt_u32 s82, s66                                      // 00000000BEC4: BF0A4252
	s_cselect_b32 s21, s36, s60                                // 00000000BEC8: 85153C24
	s_mov_b64 exec, s[20:21]                                   // 00000000BECC: BEFE0114
	global_atomic_add_f32 v6, v104, s[8:9]                     // 00000000BED0: DD348000 00086806
	global_atomic_add_f32 v6, v108, s[8:9] offset:256          // 00000000BED8: DD348100 00086C06
	s_mov_b64 exec, s[36:37]                                   // 00000000BEE0: BEFE0124
	v_mov_b32_e32 v6, v51                                      // 00000000BEE4: 7E0C0333
	s_mov_b64 s[60:61], 0                                      // 00000000BEE8: BEBC0180
	v_readlane_b32 s82, v3, 2                                  // 00000000BEEC: D2890052 00010503
	s_and_b32 s82, s82, 0xffffff                               // 00000000BEF4: 8652FF52 00FFFFFF
	s_cmp_lt_u32 s82, s66                                      // 00000000BEFC: BF0A4252
	s_cselect_b32 s20, s36, s60                                // 00000000BF00: 85143C24
	v_readlane_b32 s82, v3, 3                                  // 00000000BF04: D2890052 00010703
	s_and_b32 s82, s82, 0xffffff                               // 00000000BF0C: 8652FF52 00FFFFFF
	s_cmp_lt_u32 s82, s66                                      // 00000000BF14: BF0A4252
	s_cselect_b32 s21, s36, s60                                // 00000000BF18: 85153C24
	s_mov_b64 exec, s[20:21]                                   // 00000000BF1C: BEFE0114
	global_atomic_add_f32 v6, v105, s[8:9]                     // 00000000BF20: DD348000 00086906
	global_atomic_add_f32 v6, v109, s[8:9] offset:256          // 00000000BF28: DD348100 00086D06
	s_mov_b64 exec, s[36:37]                                   // 00000000BF30: BEFE0124
	v_mov_b32_e32 v6, v52                                      // 00000000BF34: 7E0C0334
	s_mov_b64 s[60:61], 0                                      // 00000000BF38: BEBC0180
	v_readlane_b32 s82, v3, 4                                  // 00000000BF3C: D2890052 00010903
	s_and_b32 s82, s82, 0xffffff                               // 00000000BF44: 8652FF52 00FFFFFF
	s_cmp_lt_u32 s82, s66                                      // 00000000BF4C: BF0A4252
	s_cselect_b32 s20, s36, s60                                // 00000000BF50: 85143C24
	v_readlane_b32 s82, v3, 5                                  // 00000000BF54: D2890052 00010B03
	s_and_b32 s82, s82, 0xffffff                               // 00000000BF5C: 8652FF52 00FFFFFF
	s_cmp_lt_u32 s82, s66                                      // 00000000BF64: BF0A4252
	s_cselect_b32 s21, s36, s60                                // 00000000BF68: 85153C24
	s_mov_b64 exec, s[20:21]                                   // 00000000BF6C: BEFE0114
	global_atomic_add_f32 v6, v112, s[8:9]                     // 00000000BF70: DD348000 00087006
	global_atomic_add_f32 v6, v116, s[8:9] offset:256          // 00000000BF78: DD348100 00087406
	s_mov_b64 exec, s[36:37]                                   // 00000000BF80: BEFE0124
	v_mov_b32_e32 v6, v53                                      // 00000000BF84: 7E0C0335
	s_mov_b64 s[60:61], 0                                      // 00000000BF88: BEBC0180
	v_readlane_b32 s82, v3, 6                                  // 00000000BF8C: D2890052 00010D03
	s_and_b32 s82, s82, 0xffffff                               // 00000000BF94: 8652FF52 00FFFFFF
	s_cmp_lt_u32 s82, s66                                      // 00000000BF9C: BF0A4252
	s_cselect_b32 s20, s36, s60                                // 00000000BFA0: 85143C24
	v_readlane_b32 s82, v3, 7                                  // 00000000BFA4: D2890052 00010F03
	s_and_b32 s82, s82, 0xffffff                               // 00000000BFAC: 8652FF52 00FFFFFF
	s_cmp_lt_u32 s82, s66                                      // 00000000BFB4: BF0A4252
	s_cselect_b32 s21, s36, s60                                // 00000000BFB8: 85153C24
	s_mov_b64 exec, s[20:21]                                   // 00000000BFBC: BEFE0114
	global_atomic_add_f32 v6, v113, s[8:9]                     // 00000000BFC0: DD348000 00087106
	global_atomic_add_f32 v6, v117, s[8:9] offset:256          // 00000000BFC8: DD348100 00087506
	s_mov_b64 exec, s[36:37]                                   // 00000000BFD0: BEFE0124
	v_mov_b32_e32 v6, v54                                      // 00000000BFD4: 7E0C0336
	s_mov_b64 s[60:61], 0                                      // 00000000BFD8: BEBC0180
	v_readlane_b32 s82, v3, 8                                  // 00000000BFDC: D2890052 00011103
	s_and_b32 s82, s82, 0xffffff                               // 00000000BFE4: 8652FF52 00FFFFFF
	s_cmp_lt_u32 s82, s66                                      // 00000000BFEC: BF0A4252
	s_cselect_b32 s20, s36, s60                                // 00000000BFF0: 85143C24
	v_readlane_b32 s82, v3, 9                                  // 00000000BFF4: D2890052 00011303
	s_and_b32 s82, s82, 0xffffff                               // 00000000BFFC: 8652FF52 00FFFFFF
	s_cmp_lt_u32 s82, s66                                      // 00000000C004: BF0A4252
	s_cselect_b32 s21, s36, s60                                // 00000000C008: 85153C24
	s_mov_b64 exec, s[20:21]                                   // 00000000C00C: BEFE0114
	global_atomic_add_f32 v6, v120, s[8:9]                     // 00000000C010: DD348000 00087806
	global_atomic_add_f32 v6, v124, s[8:9] offset:256          // 00000000C018: DD348100 00087C06
	s_mov_b64 exec, s[36:37]                                   // 00000000C020: BEFE0124
	v_mov_b32_e32 v6, v55                                      // 00000000C024: 7E0C0337
	s_mov_b64 s[60:61], 0                                      // 00000000C028: BEBC0180
	v_readlane_b32 s82, v3, 10                                 // 00000000C02C: D2890052 00011503
	s_and_b32 s82, s82, 0xffffff                               // 00000000C034: 8652FF52 00FFFFFF
	s_cmp_lt_u32 s82, s66                                      // 00000000C03C: BF0A4252
	s_cselect_b32 s20, s36, s60                                // 00000000C040: 85143C24
	v_readlane_b32 s82, v3, 11                                 // 00000000C044: D2890052 00011703
	s_and_b32 s82, s82, 0xffffff                               // 00000000C04C: 8652FF52 00FFFFFF
	s_cmp_lt_u32 s82, s66                                      // 00000000C054: BF0A4252
	s_cselect_b32 s21, s36, s60                                // 00000000C058: 85153C24
	s_mov_b64 exec, s[20:21]                                   // 00000000C05C: BEFE0114
	global_atomic_add_f32 v6, v121, s[8:9]                     // 00000000C060: DD348000 00087906
	global_atomic_add_f32 v6, v125, s[8:9] offset:256          // 00000000C068: DD348100 00087D06
	s_mov_b64 exec, s[36:37]                                   // 00000000C070: BEFE0124
	v_mov_b32_e32 v6, v56                                      // 00000000C074: 7E0C0338
	s_mov_b64 s[60:61], 0                                      // 00000000C078: BEBC0180
	v_readlane_b32 s82, v3, 12                                 // 00000000C07C: D2890052 00011903
	s_and_b32 s82, s82, 0xffffff                               // 00000000C084: 8652FF52 00FFFFFF
	s_cmp_lt_u32 s82, s66                                      // 00000000C08C: BF0A4252
	s_cselect_b32 s20, s36, s60                                // 00000000C090: 85143C24
	v_readlane_b32 s82, v3, 13                                 // 00000000C094: D2890052 00011B03
	s_and_b32 s82, s82, 0xffffff                               // 00000000C09C: 8652FF52 00FFFFFF
	s_cmp_lt_u32 s82, s66                                      // 00000000C0A4: BF0A4252
	s_cselect_b32 s21, s36, s60                                // 00000000C0A8: 85153C24
	s_mov_b64 exec, s[20:21]                                   // 00000000C0AC: BEFE0114
	global_atomic_add_f32 v6, v128, s[8:9]                     // 00000000C0B0: DD348000 00088006
	global_atomic_add_f32 v6, v132, s[8:9] offset:256          // 00000000C0B8: DD348100 00088406
	s_mov_b64 exec, s[36:37]                                   // 00000000C0C0: BEFE0124
	v_mov_b32_e32 v6, v57                                      // 00000000C0C4: 7E0C0339
	s_mov_b64 s[60:61], 0                                      // 00000000C0C8: BEBC0180
	v_readlane_b32 s82, v3, 14                                 // 00000000C0CC: D2890052 00011D03
	s_and_b32 s82, s82, 0xffffff                               // 00000000C0D4: 8652FF52 00FFFFFF
	s_cmp_lt_u32 s82, s66                                      // 00000000C0DC: BF0A4252
	s_cselect_b32 s20, s36, s60                                // 00000000C0E0: 85143C24
	v_readlane_b32 s82, v3, 15                                 // 00000000C0E4: D2890052 00011F03
	s_and_b32 s82, s82, 0xffffff                               // 00000000C0EC: 8652FF52 00FFFFFF
	s_cmp_lt_u32 s82, s66                                      // 00000000C0F4: BF0A4252
	s_cselect_b32 s21, s36, s60                                // 00000000C0F8: 85153C24
	s_mov_b64 exec, s[20:21]                                   // 00000000C0FC: BEFE0114
	global_atomic_add_f32 v6, v129, s[8:9]                     // 00000000C100: DD348000 00088106
	global_atomic_add_f32 v6, v133, s[8:9] offset:256          // 00000000C108: DD348100 00088506
	s_mov_b64 exec, s[36:37]                                   // 00000000C110: BEFE0124
	v_mov_b32_e32 v6, v58                                      // 00000000C114: 7E0C033A
	s_mov_b64 s[60:61], 0                                      // 00000000C118: BEBC0180
	v_readlane_b32 s82, v3, 16                                 // 00000000C11C: D2890052 00012103
	s_and_b32 s82, s82, 0xffffff                               // 00000000C124: 8652FF52 00FFFFFF
	s_cmp_lt_u32 s82, s66                                      // 00000000C12C: BF0A4252
	s_cselect_b32 s20, s36, s60                                // 00000000C130: 85143C24
	v_readlane_b32 s82, v3, 17                                 // 00000000C134: D2890052 00012303
	s_and_b32 s82, s82, 0xffffff                               // 00000000C13C: 8652FF52 00FFFFFF
	s_cmp_lt_u32 s82, s66                                      // 00000000C144: BF0A4252
	s_cselect_b32 s21, s36, s60                                // 00000000C148: 85153C24
	s_mov_b64 exec, s[20:21]                                   // 00000000C14C: BEFE0114
	global_atomic_add_f32 v6, v136, s[8:9]                     // 00000000C150: DD348000 00088806
	global_atomic_add_f32 v6, v140, s[8:9] offset:256          // 00000000C158: DD348100 00088C06
	s_mov_b64 exec, s[36:37]                                   // 00000000C160: BEFE0124
	v_mov_b32_e32 v6, v59                                      // 00000000C164: 7E0C033B
	s_mov_b64 s[60:61], 0                                      // 00000000C168: BEBC0180
	v_readlane_b32 s82, v3, 18                                 // 00000000C16C: D2890052 00012503
	s_and_b32 s82, s82, 0xffffff                               // 00000000C174: 8652FF52 00FFFFFF
	s_cmp_lt_u32 s82, s66                                      // 00000000C17C: BF0A4252
	s_cselect_b32 s20, s36, s60                                // 00000000C180: 85143C24
	v_readlane_b32 s82, v3, 19                                 // 00000000C184: D2890052 00012703
	s_and_b32 s82, s82, 0xffffff                               // 00000000C18C: 8652FF52 00FFFFFF
	s_cmp_lt_u32 s82, s66                                      // 00000000C194: BF0A4252
	s_cselect_b32 s21, s36, s60                                // 00000000C198: 85153C24
	s_mov_b64 exec, s[20:21]                                   // 00000000C19C: BEFE0114
	global_atomic_add_f32 v6, v137, s[8:9]                     // 00000000C1A0: DD348000 00088906
	global_atomic_add_f32 v6, v141, s[8:9] offset:256          // 00000000C1A8: DD348100 00088D06
	s_mov_b64 exec, s[36:37]                                   // 00000000C1B0: BEFE0124
	ds_write_b64 v20, v[106:107]                               // 00000000C1B4: D89A0000 00006A14
	ds_write_b64 v20, v[110:111] offset:4352                   // 00000000C1BC: D89A1100 00006E14
	ds_write_b64 v20, v[114:115] offset:8704                   // 00000000C1C4: D89A2200 00007214
	ds_write_b64 v20, v[118:119] offset:13056                  // 00000000C1CC: D89A3300 00007614
	ds_write_b64 v20, v[122:123] offset:17408                  // 00000000C1D4: D89A4400 00007A14
	ds_write_b64 v20, v[126:127] offset:2176                   // 00000000C1DC: D89A0880 00007E14
	ds_write_b64 v20, v[130:131] offset:6528                   // 00000000C1E4: D89A1980 00008214
	ds_write_b64 v20, v[134:135] offset:10880                  // 00000000C1EC: D89A2A80 00008614
	ds_write_b64 v20, v[138:139] offset:15232                  // 00000000C1F4: D89A3B80 00008A14
	ds_write_b64 v20, v[142:143] offset:19584                  // 00000000C1FC: D89A4C80 00008E14
	s_waitcnt lgkmcnt(0)                                       // 00000000C204: BF8CC07F
	s_barrier                                                  // 00000000C208: BF8A0000
	ds_read_b32 v106, v21                                      // 00000000C20C: D86C0000 6A000015
	ds_read_b32 v107, v21 offset:64                            // 00000000C214: D86C0040 6B000015
	ds_read_b32 v110, v21 offset:2176                          // 00000000C21C: D86C0880 6E000015
	ds_read_b32 v111, v21 offset:2240                          // 00000000C224: D86C08C0 6F000015
	ds_read_b32 v114, v21 offset:4352                          // 00000000C22C: D86C1100 72000015
	ds_read_b32 v115, v21 offset:4416                          // 00000000C234: D86C1140 73000015
	ds_read_b32 v118, v21 offset:6528                          // 00000000C23C: D86C1980 76000015
	ds_read_b32 v119, v21 offset:6592                          // 00000000C244: D86C19C0 77000015
	ds_read_b32 v122, v21 offset:8704                          // 00000000C24C: D86C2200 7A000015
	ds_read_b32 v123, v21 offset:8768                          // 00000000C254: D86C2240 7B000015
	ds_read_b32 v126, v21 offset:10880                         // 00000000C25C: D86C2A80 7E000015
	ds_read_b32 v127, v21 offset:10944                         // 00000000C264: D86C2AC0 7F000015
	ds_read_b32 v130, v21 offset:13056                         // 00000000C26C: D86C3300 82000015
	ds_read_b32 v131, v21 offset:13120                         // 00000000C274: D86C3340 83000015
	ds_read_b32 v134, v21 offset:15232                         // 00000000C27C: D86C3B80 86000015
	ds_read_b32 v135, v21 offset:15296                         // 00000000C284: D86C3BC0 87000015
	ds_read_b32 v138, v21 offset:17408                         // 00000000C28C: D86C4400 8A000015
	ds_read_b32 v139, v21 offset:17472                         // 00000000C294: D86C4440 8B000015
	ds_read_b32 v142, v21 offset:19584                         // 00000000C29C: D86C4C80 8E000015
	ds_read_b32 v143, v21 offset:19648                         // 00000000C2A4: D86C4CC0 8F000015
	s_waitcnt lgkmcnt(0)                                       // 00000000C2AC: BF8CC07F
	v_mov_b32_e32 v7, 0                                        // 00000000C2B0: 7E0E0280
	s_mov_b64 exec, s[36:37]                                   // 00000000C2B4: BEFE0124
	v_mov_b32_e32 v6, v50                                      // 00000000C2B8: 7E0C0332
	s_mov_b64 s[60:61], 0                                      // 00000000C2BC: BEBC0180
	v_readlane_b32 s82, v3, 0                                  // 00000000C2C0: D2890052 00010103
	s_and_b32 s82, s82, 0xffffff                               // 00000000C2C8: 8652FF52 00FFFFFF
	s_cmp_lt_u32 s82, s66                                      // 00000000C2D0: BF0A4252
	s_cselect_b32 s20, s36, s60                                // 00000000C2D4: 85143C24
	v_readlane_b32 s82, v3, 1                                  // 00000000C2D8: D2890052 00010303
	s_and_b32 s82, s82, 0xffffff                               // 00000000C2E0: 8652FF52 00FFFFFF
	s_cmp_lt_u32 s82, s66                                      // 00000000C2E8: BF0A4252
	s_cselect_b32 s21, s36, s60                                // 00000000C2EC: 85153C24
	s_mov_b64 exec, s[20:21]                                   // 00000000C2F0: BEFE0114
	global_atomic_add_f32 v6, v106, s[8:9] offset:8            // 00000000C2F4: DD348008 00086A06
	global_atomic_add_f32 v6, v110, s[8:9] offset:264          // 00000000C2FC: DD348108 00086E06
	s_mov_b64 exec, s[36:37]                                   // 00000000C304: BEFE0124
	v_mov_b32_e32 v6, v51                                      // 00000000C308: 7E0C0333
	s_mov_b64 s[60:61], 0                                      // 00000000C30C: BEBC0180
	v_readlane_b32 s82, v3, 2                                  // 00000000C310: D2890052 00010503
	s_and_b32 s82, s82, 0xffffff                               // 00000000C318: 8652FF52 00FFFFFF
	s_cmp_lt_u32 s82, s66                                      // 00000000C320: BF0A4252
	s_cselect_b32 s20, s36, s60                                // 00000000C324: 85143C24
	v_readlane_b32 s82, v3, 3                                  // 00000000C328: D2890052 00010703
	s_and_b32 s82, s82, 0xffffff                               // 00000000C330: 8652FF52 00FFFFFF
	s_cmp_lt_u32 s82, s66                                      // 00000000C338: BF0A4252
	s_cselect_b32 s21, s36, s60                                // 00000000C33C: 85153C24
	s_mov_b64 exec, s[20:21]                                   // 00000000C340: BEFE0114
	global_atomic_add_f32 v6, v107, s[8:9] offset:8            // 00000000C344: DD348008 00086B06
	global_atomic_add_f32 v6, v111, s[8:9] offset:264          // 00000000C34C: DD348108 00086F06
	s_mov_b64 exec, s[36:37]                                   // 00000000C354: BEFE0124
	v_mov_b32_e32 v6, v52                                      // 00000000C358: 7E0C0334
	s_mov_b64 s[60:61], 0                                      // 00000000C35C: BEBC0180
	v_readlane_b32 s82, v3, 4                                  // 00000000C360: D2890052 00010903
	s_and_b32 s82, s82, 0xffffff                               // 00000000C368: 8652FF52 00FFFFFF
	s_cmp_lt_u32 s82, s66                                      // 00000000C370: BF0A4252
	s_cselect_b32 s20, s36, s60                                // 00000000C374: 85143C24
	v_readlane_b32 s82, v3, 5                                  // 00000000C378: D2890052 00010B03
	s_and_b32 s82, s82, 0xffffff                               // 00000000C380: 8652FF52 00FFFFFF
	s_cmp_lt_u32 s82, s66                                      // 00000000C388: BF0A4252
	s_cselect_b32 s21, s36, s60                                // 00000000C38C: 85153C24
	s_mov_b64 exec, s[20:21]                                   // 00000000C390: BEFE0114
	global_atomic_add_f32 v6, v114, s[8:9] offset:8            // 00000000C394: DD348008 00087206
	global_atomic_add_f32 v6, v118, s[8:9] offset:264          // 00000000C39C: DD348108 00087606
	s_mov_b64 exec, s[36:37]                                   // 00000000C3A4: BEFE0124
	v_mov_b32_e32 v6, v53                                      // 00000000C3A8: 7E0C0335
	s_mov_b64 s[60:61], 0                                      // 00000000C3AC: BEBC0180
	v_readlane_b32 s82, v3, 6                                  // 00000000C3B0: D2890052 00010D03
	s_and_b32 s82, s82, 0xffffff                               // 00000000C3B8: 8652FF52 00FFFFFF
	s_cmp_lt_u32 s82, s66                                      // 00000000C3C0: BF0A4252
	s_cselect_b32 s20, s36, s60                                // 00000000C3C4: 85143C24
	v_readlane_b32 s82, v3, 7                                  // 00000000C3C8: D2890052 00010F03
	s_and_b32 s82, s82, 0xffffff                               // 00000000C3D0: 8652FF52 00FFFFFF
	s_cmp_lt_u32 s82, s66                                      // 00000000C3D8: BF0A4252
	s_cselect_b32 s21, s36, s60                                // 00000000C3DC: 85153C24
	s_mov_b64 exec, s[20:21]                                   // 00000000C3E0: BEFE0114
	global_atomic_add_f32 v6, v115, s[8:9] offset:8            // 00000000C3E4: DD348008 00087306
	global_atomic_add_f32 v6, v119, s[8:9] offset:264          // 00000000C3EC: DD348108 00087706
	s_mov_b64 exec, s[36:37]                                   // 00000000C3F4: BEFE0124
	v_mov_b32_e32 v6, v54                                      // 00000000C3F8: 7E0C0336
	s_mov_b64 s[60:61], 0                                      // 00000000C3FC: BEBC0180
	v_readlane_b32 s82, v3, 8                                  // 00000000C400: D2890052 00011103
	s_and_b32 s82, s82, 0xffffff                               // 00000000C408: 8652FF52 00FFFFFF
	s_cmp_lt_u32 s82, s66                                      // 00000000C410: BF0A4252
	s_cselect_b32 s20, s36, s60                                // 00000000C414: 85143C24
	v_readlane_b32 s82, v3, 9                                  // 00000000C418: D2890052 00011303
	s_and_b32 s82, s82, 0xffffff                               // 00000000C420: 8652FF52 00FFFFFF
	s_cmp_lt_u32 s82, s66                                      // 00000000C428: BF0A4252
	s_cselect_b32 s21, s36, s60                                // 00000000C42C: 85153C24
	s_mov_b64 exec, s[20:21]                                   // 00000000C430: BEFE0114
	global_atomic_add_f32 v6, v122, s[8:9] offset:8            // 00000000C434: DD348008 00087A06
	global_atomic_add_f32 v6, v126, s[8:9] offset:264          // 00000000C43C: DD348108 00087E06
	s_mov_b64 exec, s[36:37]                                   // 00000000C444: BEFE0124
	v_mov_b32_e32 v6, v55                                      // 00000000C448: 7E0C0337
	s_mov_b64 s[60:61], 0                                      // 00000000C44C: BEBC0180
	v_readlane_b32 s82, v3, 10                                 // 00000000C450: D2890052 00011503
	s_and_b32 s82, s82, 0xffffff                               // 00000000C458: 8652FF52 00FFFFFF
	s_cmp_lt_u32 s82, s66                                      // 00000000C460: BF0A4252
	s_cselect_b32 s20, s36, s60                                // 00000000C464: 85143C24
	v_readlane_b32 s82, v3, 11                                 // 00000000C468: D2890052 00011703
	s_and_b32 s82, s82, 0xffffff                               // 00000000C470: 8652FF52 00FFFFFF
	s_cmp_lt_u32 s82, s66                                      // 00000000C478: BF0A4252
	s_cselect_b32 s21, s36, s60                                // 00000000C47C: 85153C24
	s_mov_b64 exec, s[20:21]                                   // 00000000C480: BEFE0114
	global_atomic_add_f32 v6, v123, s[8:9] offset:8            // 00000000C484: DD348008 00087B06
	global_atomic_add_f32 v6, v127, s[8:9] offset:264          // 00000000C48C: DD348108 00087F06
	s_mov_b64 exec, s[36:37]                                   // 00000000C494: BEFE0124
	v_mov_b32_e32 v6, v56                                      // 00000000C498: 7E0C0338
	s_mov_b64 s[60:61], 0                                      // 00000000C49C: BEBC0180
	v_readlane_b32 s82, v3, 12                                 // 00000000C4A0: D2890052 00011903
	s_and_b32 s82, s82, 0xffffff                               // 00000000C4A8: 8652FF52 00FFFFFF
	s_cmp_lt_u32 s82, s66                                      // 00000000C4B0: BF0A4252
	s_cselect_b32 s20, s36, s60                                // 00000000C4B4: 85143C24
	v_readlane_b32 s82, v3, 13                                 // 00000000C4B8: D2890052 00011B03
	s_and_b32 s82, s82, 0xffffff                               // 00000000C4C0: 8652FF52 00FFFFFF
	s_cmp_lt_u32 s82, s66                                      // 00000000C4C8: BF0A4252
	s_cselect_b32 s21, s36, s60                                // 00000000C4CC: 85153C24
	s_mov_b64 exec, s[20:21]                                   // 00000000C4D0: BEFE0114
	global_atomic_add_f32 v6, v130, s[8:9] offset:8            // 00000000C4D4: DD348008 00088206
	global_atomic_add_f32 v6, v134, s[8:9] offset:264          // 00000000C4DC: DD348108 00088606
	s_mov_b64 exec, s[36:37]                                   // 00000000C4E4: BEFE0124
	v_mov_b32_e32 v6, v57                                      // 00000000C4E8: 7E0C0339
	s_mov_b64 s[60:61], 0                                      // 00000000C4EC: BEBC0180
	v_readlane_b32 s82, v3, 14                                 // 00000000C4F0: D2890052 00011D03
	s_and_b32 s82, s82, 0xffffff                               // 00000000C4F8: 8652FF52 00FFFFFF
	s_cmp_lt_u32 s82, s66                                      // 00000000C500: BF0A4252
	s_cselect_b32 s20, s36, s60                                // 00000000C504: 85143C24
	v_readlane_b32 s82, v3, 15                                 // 00000000C508: D2890052 00011F03
	s_and_b32 s82, s82, 0xffffff                               // 00000000C510: 8652FF52 00FFFFFF
	s_cmp_lt_u32 s82, s66                                      // 00000000C518: BF0A4252
	s_cselect_b32 s21, s36, s60                                // 00000000C51C: 85153C24
	s_mov_b64 exec, s[20:21]                                   // 00000000C520: BEFE0114
	global_atomic_add_f32 v6, v131, s[8:9] offset:8            // 00000000C524: DD348008 00088306
	global_atomic_add_f32 v6, v135, s[8:9] offset:264          // 00000000C52C: DD348108 00088706
	s_mov_b64 exec, s[36:37]                                   // 00000000C534: BEFE0124
	v_mov_b32_e32 v6, v58                                      // 00000000C538: 7E0C033A
	s_mov_b64 s[60:61], 0                                      // 00000000C53C: BEBC0180
	v_readlane_b32 s82, v3, 16                                 // 00000000C540: D2890052 00012103
	s_and_b32 s82, s82, 0xffffff                               // 00000000C548: 8652FF52 00FFFFFF
	s_cmp_lt_u32 s82, s66                                      // 00000000C550: BF0A4252
	s_cselect_b32 s20, s36, s60                                // 00000000C554: 85143C24
	v_readlane_b32 s82, v3, 17                                 // 00000000C558: D2890052 00012303
	s_and_b32 s82, s82, 0xffffff                               // 00000000C560: 8652FF52 00FFFFFF
	s_cmp_lt_u32 s82, s66                                      // 00000000C568: BF0A4252
	s_cselect_b32 s21, s36, s60                                // 00000000C56C: 85153C24
	s_mov_b64 exec, s[20:21]                                   // 00000000C570: BEFE0114
	global_atomic_add_f32 v6, v138, s[8:9] offset:8            // 00000000C574: DD348008 00088A06
	global_atomic_add_f32 v6, v142, s[8:9] offset:264          // 00000000C57C: DD348108 00088E06
	s_mov_b64 exec, s[36:37]                                   // 00000000C584: BEFE0124
	v_mov_b32_e32 v6, v59                                      // 00000000C588: 7E0C033B
	s_mov_b64 s[60:61], 0                                      // 00000000C58C: BEBC0180
	v_readlane_b32 s82, v3, 18                                 // 00000000C590: D2890052 00012503
	s_and_b32 s82, s82, 0xffffff                               // 00000000C598: 8652FF52 00FFFFFF
	s_cmp_lt_u32 s82, s66                                      // 00000000C5A0: BF0A4252
	s_cselect_b32 s20, s36, s60                                // 00000000C5A4: 85143C24
	v_readlane_b32 s82, v3, 19                                 // 00000000C5A8: D2890052 00012703
	s_and_b32 s82, s82, 0xffffff                               // 00000000C5B0: 8652FF52 00FFFFFF
	s_cmp_lt_u32 s82, s66                                      // 00000000C5B8: BF0A4252
	s_cselect_b32 s21, s36, s60                                // 00000000C5BC: 85153C24
	s_mov_b64 exec, s[20:21]                                   // 00000000C5C0: BEFE0114
	global_atomic_add_f32 v6, v139, s[8:9] offset:8            // 00000000C5C4: DD348008 00088B06
	global_atomic_add_f32 v6, v143, s[8:9] offset:264          // 00000000C5CC: DD348108 00088F06
	s_mov_b64 exec, s[36:37]                                   // 00000000C5D4: BEFE0124
	s_branch label_26FA                                        // 00000000C5D8: BF820000

000000000000c5dc <label_26FA>:
	s_waitcnt vmcnt(0) expcnt(0) lgkmcnt(0)                    // 00000000C5DC: BF8C0000
	s_endpgm                                                   // 00000000C5E0: BF810000
